;; amdgpu-corpus repo=ROCm/rocFFT kind=compiled arch=gfx906 opt=O3
	.text
	.amdgcn_target "amdgcn-amd-amdhsa--gfx906"
	.amdhsa_code_object_version 6
	.protected	bluestein_single_back_len825_dim1_dp_op_CI_CI ; -- Begin function bluestein_single_back_len825_dim1_dp_op_CI_CI
	.globl	bluestein_single_back_len825_dim1_dp_op_CI_CI
	.p2align	8
	.type	bluestein_single_back_len825_dim1_dp_op_CI_CI,@function
bluestein_single_back_len825_dim1_dp_op_CI_CI: ; @bluestein_single_back_len825_dim1_dp_op_CI_CI
; %bb.0:
	s_load_dwordx4 s[8:11], s[4:5], 0x28
	s_mov_b64 s[46:47], s[2:3]
	v_mul_u32_u24_e32 v1, 0x4a8, v0
	s_mov_b64 s[44:45], s[0:1]
	v_add_u32_sdwa v4, s6, v1 dst_sel:DWORD dst_unused:UNUSED_PAD src0_sel:DWORD src1_sel:WORD_1
	v_mov_b32_e32 v5, 0
	s_add_u32 s44, s44, s7
	s_waitcnt lgkmcnt(0)
	v_cmp_gt_u64_e32 vcc, s[8:9], v[4:5]
	s_addc_u32 s45, s45, 0
	s_and_saveexec_b64 s[0:1], vcc
	s_cbranch_execz .LBB0_15
; %bb.1:
	s_load_dwordx4 s[0:3], s[4:5], 0x18
	v_mov_b32_e32 v2, 55
	v_mul_lo_u16_sdwa v1, v1, v2 dst_sel:DWORD dst_unused:UNUSED_PAD src0_sel:WORD_1 src1_sel:DWORD
	v_sub_u16_e32 v9, v0, v1
	v_mov_b32_e32 v5, v4
	s_waitcnt lgkmcnt(0)
	s_load_dwordx4 s[12:15], s[0:1], 0x0
	buffer_store_dword v5, off, s[44:47], 0 ; 4-byte Folded Spill
	s_nop 0
	buffer_store_dword v6, off, s[44:47], 0 offset:4 ; 4-byte Folded Spill
	s_waitcnt lgkmcnt(0)
	v_mad_u64_u32 v[0:1], s[0:1], s14, v4, 0
	v_mad_u64_u32 v[2:3], s[0:1], s12, v9, 0
	s_mul_i32 s6, s13, 0x4b
	s_mul_hi_u32 s7, s12, 0x4b
	v_mad_u64_u32 v[4:5], s[0:1], s15, v4, v[1:2]
	s_load_dwordx2 s[14:15], s[4:5], 0x0
	s_add_i32 s7, s7, s6
	v_mad_u64_u32 v[5:6], s[0:1], s13, v9, v[3:4]
	v_mov_b32_e32 v1, v4
	v_lshlrev_b64 v[0:1], 4, v[0:1]
	v_mov_b32_e32 v6, s11
	v_mov_b32_e32 v3, v5
	v_add_co_u32_e32 v4, vcc, s10, v0
	v_addc_co_u32_e32 v5, vcc, v6, v1, vcc
	v_lshlrev_b64 v[0:1], 4, v[2:3]
	s_mul_i32 s6, s12, 0x4b
	v_add_co_u32_e32 v2, vcc, v4, v0
	v_lshlrev_b32_e32 v4, 4, v9
	v_addc_co_u32_e32 v3, vcc, v5, v1, vcc
	s_waitcnt lgkmcnt(0)
	v_mov_b32_e32 v1, s15
	v_add_co_u32_e64 v0, s[0:1], s14, v4
	v_addc_co_u32_e64 v1, vcc, 0, v1, s[0:1]
	s_lshl_b64 s[16:17], s[6:7], 4
	v_mov_b32_e32 v7, s17
	v_add_co_u32_e32 v5, vcc, s16, v2
	v_addc_co_u32_e32 v6, vcc, v3, v7, vcc
	global_load_dwordx4 v[50:53], v[2:3], off
	global_load_dwordx4 v[54:57], v[5:6], off
	global_load_dwordx4 v[110:113], v4, s[14:15]
	global_load_dwordx4 v[34:37], v4, s[14:15] offset:1200
	v_add_co_u32_e32 v2, vcc, s16, v5
	v_addc_co_u32_e32 v3, vcc, v6, v7, vcc
	v_add_co_u32_e32 v5, vcc, s16, v2
	v_addc_co_u32_e32 v6, vcc, v3, v7, vcc
	global_load_dwordx4 v[58:61], v[2:3], off
	global_load_dwordx4 v[62:65], v[5:6], off
	global_load_dwordx4 v[38:41], v4, s[14:15] offset:2400
	global_load_dwordx4 v[18:21], v4, s[14:15] offset:3600
	v_add_co_u32_e32 v2, vcc, s16, v5
	v_addc_co_u32_e32 v3, vcc, v6, v7, vcc
	s_movk_i32 s6, 0x1000
	v_add_co_u32_e32 v44, vcc, s6, v0
	v_addc_co_u32_e32 v45, vcc, 0, v1, vcc
	global_load_dwordx4 v[66:69], v[2:3], off
	v_add_co_u32_e32 v2, vcc, s16, v2
	v_addc_co_u32_e32 v3, vcc, v3, v7, vcc
	global_load_dwordx4 v[70:73], v[2:3], off
	global_load_dwordx4 v[106:109], v[44:45], off offset:704
	global_load_dwordx4 v[22:25], v[44:45], off offset:1904
	v_add_co_u32_e32 v2, vcc, s16, v2
	v_addc_co_u32_e32 v3, vcc, v3, v7, vcc
	global_load_dwordx4 v[74:77], v[2:3], off
	global_load_dwordx4 v[14:17], v[44:45], off offset:3104
	v_add_co_u32_e32 v2, vcc, s16, v2
	v_addc_co_u32_e32 v3, vcc, v3, v7, vcc
	s_movk_i32 s6, 0x2000
	v_add_co_u32_e32 v46, vcc, s6, v0
	v_addc_co_u32_e32 v47, vcc, 0, v1, vcc
	global_load_dwordx4 v[78:81], v[2:3], off
	v_add_co_u32_e32 v2, vcc, s16, v2
	v_addc_co_u32_e32 v3, vcc, v3, v7, vcc
	global_load_dwordx4 v[82:85], v[2:3], off
	global_load_dwordx4 v[102:105], v[46:47], off offset:208
	global_load_dwordx4 v[10:13], v[46:47], off offset:1408
	v_add_co_u32_e32 v2, vcc, s16, v2
	v_addc_co_u32_e32 v3, vcc, v3, v7, vcc
	v_add_co_u32_e32 v48, vcc, s16, v2
	global_load_dwordx4 v[86:89], v[2:3], off
	v_addc_co_u32_e32 v49, vcc, v3, v7, vcc
	global_load_dwordx4 v[26:29], v[46:47], off offset:2608
	global_load_dwordx4 v[90:93], v[48:49], off
	global_load_dwordx4 v[30:33], v[46:47], off offset:3808
	v_cmp_gt_u16_e32 vcc, 20, v9
	s_waitcnt vmcnt(19)
	v_mul_f64 v[2:3], v[52:53], v[112:113]
	s_waitcnt vmcnt(18)
	v_mul_f64 v[94:95], v[56:57], v[36:37]
	v_mul_f64 v[5:6], v[50:51], v[112:113]
	;; [unrolled: 1-line block ×3, first 2 shown]
	v_fma_f64 v[50:51], v[50:51], v[110:111], v[2:3]
	s_waitcnt vmcnt(15)
	v_mul_f64 v[98:99], v[60:61], v[40:41]
	buffer_store_dword v110, off, s[44:47], 0 offset:172 ; 4-byte Folded Spill
	s_nop 0
	buffer_store_dword v111, off, s[44:47], 0 offset:176 ; 4-byte Folded Spill
	buffer_store_dword v112, off, s[44:47], 0 offset:180 ; 4-byte Folded Spill
	;; [unrolled: 1-line block ×3, first 2 shown]
	v_fma_f64 v[54:55], v[54:55], v[34:35], v[94:95]
	buffer_store_dword v34, off, s[44:47], 0 offset:108 ; 4-byte Folded Spill
	s_nop 0
	buffer_store_dword v35, off, s[44:47], 0 offset:112 ; 4-byte Folded Spill
	buffer_store_dword v36, off, s[44:47], 0 offset:116 ; 4-byte Folded Spill
	;; [unrolled: 1-line block ×3, first 2 shown]
	v_mul_f64 v[100:101], v[58:59], v[40:41]
	s_waitcnt vmcnt(22)
	v_mul_f64 v[2:3], v[64:65], v[20:21]
	v_fma_f64 v[58:59], v[58:59], v[38:39], v[98:99]
	buffer_store_dword v38, off, s[44:47], 0 offset:124 ; 4-byte Folded Spill
	s_nop 0
	buffer_store_dword v39, off, s[44:47], 0 offset:128 ; 4-byte Folded Spill
	buffer_store_dword v40, off, s[44:47], 0 offset:132 ; 4-byte Folded Spill
	;; [unrolled: 1-line block ×3, first 2 shown]
	s_load_dwordx2 s[6:7], s[4:5], 0x38
	s_load_dwordx4 s[8:11], s[2:3], 0x0
	s_waitcnt vmcnt(20)
	v_mul_f64 v[94:95], v[76:77], v[16:17]
	v_fma_f64 v[52:53], v[52:53], v[110:111], -v[5:6]
	v_mul_f64 v[5:6], v[62:63], v[20:21]
	v_fma_f64 v[56:57], v[56:57], v[34:35], -v[96:97]
	;; [unrolled: 2-line block ×3, first 2 shown]
	ds_write_b128 v4, v[50:53]
	ds_write_b128 v4, v[54:57] offset:1200
	ds_write_b128 v4, v[58:61] offset:2400
	v_mul_f64 v[54:55], v[68:69], v[108:109]
	v_mul_f64 v[58:59], v[72:73], v[24:25]
	v_fma_f64 v[50:51], v[62:63], v[18:19], v[2:3]
	buffer_store_dword v18, off, s[44:47], 0 offset:44 ; 4-byte Folded Spill
	s_nop 0
	buffer_store_dword v19, off, s[44:47], 0 offset:48 ; 4-byte Folded Spill
	buffer_store_dword v20, off, s[44:47], 0 offset:52 ; 4-byte Folded Spill
	;; [unrolled: 1-line block ×3, first 2 shown]
	v_mul_f64 v[56:57], v[66:67], v[108:109]
	v_mul_f64 v[60:61], v[70:71], v[24:25]
	v_fma_f64 v[62:63], v[74:75], v[14:15], v[94:95]
	s_waitcnt vmcnt(21)
	v_mul_f64 v[2:3], v[80:81], v[104:105]
	v_fma_f64 v[54:55], v[66:67], v[106:107], v[54:55]
	buffer_store_dword v106, off, s[44:47], 0 offset:156 ; 4-byte Folded Spill
	s_nop 0
	buffer_store_dword v107, off, s[44:47], 0 offset:160 ; 4-byte Folded Spill
	buffer_store_dword v108, off, s[44:47], 0 offset:164 ; 4-byte Folded Spill
	;; [unrolled: 1-line block ×3, first 2 shown]
	v_fma_f64 v[58:59], v[70:71], v[22:23], v[58:59]
	buffer_store_dword v22, off, s[44:47], 0 offset:60 ; 4-byte Folded Spill
	s_nop 0
	buffer_store_dword v23, off, s[44:47], 0 offset:64 ; 4-byte Folded Spill
	buffer_store_dword v24, off, s[44:47], 0 offset:68 ; 4-byte Folded Spill
	;; [unrolled: 1-line block ×4, first 2 shown]
	s_nop 0
	buffer_store_dword v15, off, s[44:47], 0 offset:32 ; 4-byte Folded Spill
	buffer_store_dword v16, off, s[44:47], 0 offset:36 ; 4-byte Folded Spill
	;; [unrolled: 1-line block ×3, first 2 shown]
	s_waitcnt vmcnt(32)
	v_mul_f64 v[70:71], v[84:85], v[12:13]
	s_waitcnt vmcnt(30)
	v_mul_f64 v[74:75], v[88:89], v[28:29]
	;; [unrolled: 2-line block ×3, first 2 shown]
	v_fma_f64 v[66:67], v[78:79], v[102:103], v[2:3]
	v_fma_f64 v[70:71], v[82:83], v[10:11], v[70:71]
	;; [unrolled: 1-line block ×3, first 2 shown]
	v_fma_f64 v[52:53], v[64:65], v[18:19], -v[5:6]
	v_mul_f64 v[5:6], v[78:79], v[104:105]
	buffer_store_dword v102, off, s[44:47], 0 offset:140 ; 4-byte Folded Spill
	s_nop 0
	buffer_store_dword v103, off, s[44:47], 0 offset:144 ; 4-byte Folded Spill
	buffer_store_dword v104, off, s[44:47], 0 offset:148 ; 4-byte Folded Spill
	;; [unrolled: 1-line block ×3, first 2 shown]
	v_fma_f64 v[78:79], v[90:91], v[30:31], v[94:95]
	v_fma_f64 v[56:57], v[68:69], v[106:107], -v[56:57]
	v_fma_f64 v[60:61], v[72:73], v[22:23], -v[60:61]
	v_mul_f64 v[72:73], v[82:83], v[12:13]
	buffer_store_dword v10, off, s[44:47], 0 offset:12 ; 4-byte Folded Spill
	s_nop 0
	buffer_store_dword v11, off, s[44:47], 0 offset:16 ; 4-byte Folded Spill
	buffer_store_dword v12, off, s[44:47], 0 offset:20 ; 4-byte Folded Spill
	;; [unrolled: 1-line block ×3, first 2 shown]
	v_fma_f64 v[64:65], v[76:77], v[14:15], -v[96:97]
	v_mul_f64 v[76:77], v[86:87], v[28:29]
	buffer_store_dword v26, off, s[44:47], 0 offset:76 ; 4-byte Folded Spill
	s_nop 0
	buffer_store_dword v27, off, s[44:47], 0 offset:80 ; 4-byte Folded Spill
	buffer_store_dword v28, off, s[44:47], 0 offset:84 ; 4-byte Folded Spill
	;; [unrolled: 1-line block ×3, first 2 shown]
	v_mul_f64 v[96:97], v[90:91], v[32:33]
	buffer_store_dword v30, off, s[44:47], 0 offset:92 ; 4-byte Folded Spill
	s_nop 0
	buffer_store_dword v31, off, s[44:47], 0 offset:96 ; 4-byte Folded Spill
	buffer_store_dword v32, off, s[44:47], 0 offset:100 ; 4-byte Folded Spill
	buffer_store_dword v33, off, s[44:47], 0 offset:104 ; 4-byte Folded Spill
	v_fma_f64 v[68:69], v[80:81], v[102:103], -v[5:6]
	v_fma_f64 v[72:73], v[84:85], v[10:11], -v[72:73]
	v_fma_f64 v[76:77], v[88:89], v[26:27], -v[76:77]
	v_fma_f64 v[80:81], v[92:93], v[30:31], -v[96:97]
	ds_write_b128 v4, v[50:53] offset:3600
	ds_write_b128 v4, v[54:57] offset:4800
	;; [unrolled: 1-line block ×8, first 2 shown]
	s_and_saveexec_b64 s[18:19], vcc
	s_cbranch_execz .LBB0_3
; %bb.2:
	v_mov_b32_e32 v2, 0xffffd490
	v_mad_u64_u32 v[2:3], s[2:3], s12, v2, v[48:49]
	s_mul_i32 s2, s13, 0xffffd490
	s_sub_i32 s2, s2, s12
	v_add_u32_e32 v3, s2, v3
	global_load_dwordx4 v[48:51], v[2:3], off
	v_mov_b32_e32 v5, s17
	v_add_co_u32_e64 v2, s[2:3], s16, v2
	v_addc_co_u32_e64 v3, s[2:3], v3, v5, s[2:3]
	global_load_dwordx4 v[52:55], v[2:3], off
	global_load_dwordx4 v[56:59], v[0:1], off offset:880
	global_load_dwordx4 v[60:63], v[0:1], off offset:2080
	v_add_co_u32_e64 v2, s[2:3], s16, v2
	v_addc_co_u32_e64 v3, s[2:3], v3, v5, s[2:3]
	global_load_dwordx4 v[64:67], v[2:3], off
	v_add_co_u32_e64 v2, s[2:3], s16, v2
	v_addc_co_u32_e64 v3, s[2:3], v3, v5, s[2:3]
	global_load_dwordx4 v[68:71], v[2:3], off
	global_load_dwordx4 v[72:75], v[0:1], off offset:3280
	global_load_dwordx4 v[76:79], v[44:45], off offset:384
	v_add_co_u32_e64 v2, s[2:3], s16, v2
	v_addc_co_u32_e64 v3, s[2:3], v3, v5, s[2:3]
	global_load_dwordx4 v[80:83], v[2:3], off
	;; [unrolled: 8-line block ×3, first 2 shown]
	v_add_co_u32_e64 v2, s[2:3], s16, v2
	v_addc_co_u32_e64 v3, s[2:3], v3, v5, s[2:3]
	global_load_dwordx4 v[100:103], v[44:45], off offset:3984
	global_load_dwordx4 v[104:107], v[2:3], off
	global_load_dwordx4 v[108:111], v[46:47], off offset:1088
	v_add_co_u32_e64 v2, s[2:3], s16, v2
	v_addc_co_u32_e64 v3, s[2:3], v3, v5, s[2:3]
	global_load_dwordx4 v[112:115], v[2:3], off
	v_add_co_u32_e64 v2, s[2:3], s16, v2
	v_addc_co_u32_e64 v3, s[2:3], v3, v5, s[2:3]
	global_load_dwordx4 v[116:119], v[2:3], off
	global_load_dwordx4 v[120:123], v[46:47], off offset:2288
	s_nop 0
	global_load_dwordx4 v[44:47], v[46:47], off offset:3488
	v_add_co_u32_e64 v2, s[2:3], s16, v2
	v_addc_co_u32_e64 v3, s[2:3], v3, v5, s[2:3]
	s_movk_i32 s2, 0x3000
	v_add_co_u32_e64 v5, s[2:3], s2, v0
	v_addc_co_u32_e64 v6, s[2:3], 0, v1, s[2:3]
	global_load_dwordx4 v[124:127], v[5:6], off offset:592
	global_load_dwordx4 v[128:131], v[2:3], off
	s_waitcnt vmcnt(19)
	v_mul_f64 v[2:3], v[50:51], v[58:59]
	v_mul_f64 v[5:6], v[48:49], v[58:59]
	s_waitcnt vmcnt(18)
	v_mul_f64 v[58:59], v[54:55], v[62:63]
	v_mul_f64 v[62:63], v[52:53], v[62:63]
	v_fma_f64 v[48:49], v[48:49], v[56:57], v[2:3]
	v_fma_f64 v[50:51], v[50:51], v[56:57], -v[5:6]
	s_waitcnt vmcnt(15)
	v_mul_f64 v[132:133], v[66:67], v[74:75]
	v_mul_f64 v[74:75], v[64:65], v[74:75]
	v_fma_f64 v[52:53], v[52:53], v[60:61], v[58:59]
	v_fma_f64 v[54:55], v[54:55], v[60:61], -v[62:63]
	;; [unrolled: 5-line block ×3, first 2 shown]
	s_waitcnt vmcnt(11)
	v_mul_f64 v[136:137], v[82:83], v[90:91]
	v_mul_f64 v[90:91], v[80:81], v[90:91]
	s_waitcnt vmcnt(10)
	v_mul_f64 v[138:139], v[86:87], v[94:95]
	v_mul_f64 v[94:95], v[84:85], v[94:95]
	ds_write_b128 v4, v[48:51] offset:880
	ds_write_b128 v4, v[52:55] offset:2080
	;; [unrolled: 1-line block ×3, first 2 shown]
	v_fma_f64 v[62:63], v[70:71], v[76:77], -v[78:79]
	v_fma_f64 v[60:61], v[68:69], v[76:77], v[134:135]
	v_fma_f64 v[64:65], v[80:81], v[88:89], v[136:137]
	s_waitcnt vmcnt(8)
	v_mul_f64 v[140:141], v[98:99], v[102:103]
	v_mul_f64 v[102:103], v[96:97], v[102:103]
	s_waitcnt vmcnt(6)
	v_mul_f64 v[2:3], v[106:107], v[110:111]
	v_mul_f64 v[5:6], v[104:105], v[110:111]
	v_fma_f64 v[66:67], v[82:83], v[88:89], -v[90:91]
	v_fma_f64 v[68:69], v[84:85], v[92:93], v[138:139]
	v_fma_f64 v[70:71], v[86:87], v[92:93], -v[94:95]
	v_fma_f64 v[72:73], v[96:97], v[100:101], v[140:141]
	v_fma_f64 v[74:75], v[98:99], v[100:101], -v[102:103]
	s_waitcnt vmcnt(3)
	v_mul_f64 v[50:51], v[114:115], v[122:123]
	v_mul_f64 v[52:53], v[112:113], v[122:123]
	s_waitcnt vmcnt(2)
	v_mul_f64 v[54:55], v[118:119], v[46:47]
	v_mul_f64 v[56:57], v[116:117], v[46:47]
	v_fma_f64 v[46:47], v[104:105], v[108:109], v[2:3]
	v_fma_f64 v[48:49], v[106:107], v[108:109], -v[5:6]
	v_fma_f64 v[50:51], v[112:113], v[120:121], v[50:51]
	v_fma_f64 v[52:53], v[114:115], v[120:121], -v[52:53]
	v_fma_f64 v[54:55], v[116:117], v[44:45], v[54:55]
	s_waitcnt vmcnt(0)
	v_mul_f64 v[58:59], v[130:131], v[126:127]
	v_mul_f64 v[78:79], v[128:129], v[126:127]
	v_fma_f64 v[56:57], v[118:119], v[44:45], -v[56:57]
	v_fma_f64 v[76:77], v[128:129], v[124:125], v[58:59]
	v_fma_f64 v[78:79], v[130:131], v[124:125], -v[78:79]
	ds_write_b128 v4, v[60:63] offset:4480
	ds_write_b128 v4, v[64:67] offset:5680
	;; [unrolled: 1-line block ×8, first 2 shown]
.LBB0_3:
	s_or_b64 exec, exec, s[18:19]
	s_waitcnt lgkmcnt(0)
	; wave barrier
	s_waitcnt lgkmcnt(0)
	ds_read_b128 v[124:127], v4
	ds_read_b128 v[128:131], v4 offset:1200
	ds_read_b128 v[68:71], v4 offset:2400
	;; [unrolled: 1-line block ×10, first 2 shown]
	s_load_dwordx2 s[4:5], s[4:5], 0x8
                                        ; implicit-def: $vgpr72_vgpr73
                                        ; implicit-def: $vgpr76_vgpr77
                                        ; implicit-def: $vgpr80_vgpr81
                                        ; implicit-def: $vgpr84_vgpr85
                                        ; implicit-def: $vgpr88_vgpr89
                                        ; implicit-def: $vgpr92_vgpr93
                                        ; implicit-def: $vgpr96_vgpr97
                                        ; implicit-def: $vgpr100_vgpr101
                                        ; implicit-def: $vgpr104_vgpr105
                                        ; implicit-def: $vgpr108_vgpr109
                                        ; implicit-def: $vgpr112_vgpr113
	s_and_saveexec_b64 s[2:3], vcc
	s_cbranch_execz .LBB0_5
; %bb.4:
	ds_read_b128 v[72:75], v4 offset:880
	ds_read_b128 v[76:79], v4 offset:2080
	;; [unrolled: 1-line block ×11, first 2 shown]
.LBB0_5:
	s_or_b64 exec, exec, s[2:3]
	s_waitcnt lgkmcnt(0)
	v_add_f64 v[2:3], v[124:125], v[128:129]
	v_add_f64 v[5:6], v[126:127], v[130:131]
	s_mov_b32 s26, 0xf8bb580b
	s_mov_b32 s34, 0x8eee2c13
	;; [unrolled: 1-line block ×6, first 2 shown]
	v_add_f64 v[2:3], v[2:3], v[68:69]
	v_add_f64 v[5:6], v[5:6], v[70:71]
	s_mov_b32 s35, 0xbfed1bb4
	s_mov_b32 s21, 0xbfefac9e
	s_mov_b32 s25, 0xbfe82f19
	s_mov_b32 s29, 0xbfd207e7
	v_add_co_u32_e64 v240, s[2:3], 55, v9
	v_add_f64 v[2:3], v[2:3], v[60:61]
	v_add_f64 v[5:6], v[5:6], v[62:63]
	s_mov_b32 s2, 0x8764f0ba
	s_mov_b32 s16, 0xd9c712b6
	s_mov_b32 s18, 0x640f44db
	s_mov_b32 s12, 0x7f775887
	s_mov_b32 s22, 0x9bcd5057
	s_mov_b32 s3, 0x3feaeb8c
	v_add_f64 v[2:3], v[2:3], v[52:53]
	v_add_f64 v[5:6], v[5:6], v[54:55]
	s_mov_b32 s17, 0x3fda9628
	s_mov_b32 s19, 0xbfc2375f
	s_mov_b32 s13, 0xbfe4f49e
	s_mov_b32 s23, 0xbfeeb42a
	s_mov_b32 s41, 0x3fd207e7
	s_mov_b32 s40, s28
	;; [unrolled: 8-line block ×3, first 2 shown]
	v_add_f64 v[2:3], v[2:3], v[48:49]
	v_add_f64 v[5:6], v[5:6], v[50:51]
	;; [unrolled: 1-line block ×13, first 2 shown]
	s_waitcnt lgkmcnt(0)
	; wave barrier
	v_add_f64 v[2:3], v[2:3], v[64:65]
	v_add_f64 v[5:6], v[5:6], v[66:67]
	;; [unrolled: 1-line block ×6, first 2 shown]
	v_add_f64 v[128:129], v[128:129], -v[132:133]
	v_add_f64 v[118:119], v[5:6], v[134:135]
	v_add_f64 v[5:6], v[130:131], v[134:135]
	v_add_f64 v[130:131], v[130:131], -v[134:135]
	v_mul_f64 v[136:137], v[128:129], s[26:27]
	v_mul_f64 v[144:145], v[128:129], s[34:35]
	;; [unrolled: 1-line block ×8, first 2 shown]
	v_fma_f64 v[138:139], v[5:6], s[2:3], v[136:137]
	v_fma_f64 v[136:137], v[5:6], s[2:3], -v[136:137]
	v_fma_f64 v[146:147], v[5:6], s[16:17], v[144:145]
	v_fma_f64 v[144:145], v[5:6], s[16:17], -v[144:145]
	;; [unrolled: 2-line block ×3, first 2 shown]
	v_mul_f64 v[156:157], v[130:131], s[24:25]
	v_fma_f64 v[162:163], v[5:6], s[12:13], v[160:161]
	v_fma_f64 v[160:161], v[5:6], s[12:13], -v[160:161]
	v_mul_f64 v[130:131], v[130:131], s[28:29]
	v_fma_f64 v[166:167], v[5:6], s[22:23], v[128:129]
	v_fma_f64 v[5:6], v[5:6], s[22:23], -v[128:129]
	v_fma_f64 v[134:135], v[2:3], s[2:3], -v[132:133]
	v_add_f64 v[138:139], v[126:127], v[138:139]
	v_fma_f64 v[132:133], v[2:3], s[2:3], v[132:133]
	v_add_f64 v[136:137], v[126:127], v[136:137]
	v_fma_f64 v[142:143], v[2:3], s[16:17], -v[140:141]
	v_add_f64 v[146:147], v[126:127], v[146:147]
	v_fma_f64 v[140:141], v[2:3], s[16:17], v[140:141]
	v_add_f64 v[144:145], v[126:127], v[144:145]
	v_fma_f64 v[150:151], v[2:3], s[18:19], -v[148:149]
	v_add_f64 v[154:155], v[126:127], v[154:155]
	v_fma_f64 v[148:149], v[2:3], s[18:19], v[148:149]
	v_add_f64 v[152:153], v[126:127], v[152:153]
	v_fma_f64 v[158:159], v[2:3], s[12:13], -v[156:157]
	v_add_f64 v[162:163], v[126:127], v[162:163]
	v_fma_f64 v[156:157], v[2:3], s[12:13], v[156:157]
	v_add_f64 v[160:161], v[126:127], v[160:161]
	v_fma_f64 v[164:165], v[2:3], s[22:23], -v[130:131]
	v_add_f64 v[166:167], v[126:127], v[166:167]
	v_fma_f64 v[2:3], v[2:3], s[22:23], v[130:131]
	v_add_f64 v[5:6], v[126:127], v[5:6]
	v_add_f64 v[126:127], v[70:71], v[122:123]
	v_add_f64 v[70:71], v[70:71], -v[122:123]
	v_add_f64 v[134:135], v[124:125], v[134:135]
	v_add_f64 v[132:133], v[124:125], v[132:133]
	;; [unrolled: 1-line block ×11, first 2 shown]
	v_add_f64 v[68:69], v[68:69], -v[120:121]
	v_mul_f64 v[120:121], v[70:71], s[34:35]
	v_mul_f64 v[128:129], v[68:69], s[34:35]
	v_fma_f64 v[122:123], v[124:125], s[16:17], -v[120:121]
	v_fma_f64 v[120:121], v[124:125], s[16:17], v[120:121]
	v_fma_f64 v[130:131], v[126:127], s[16:17], v[128:129]
	v_add_f64 v[122:123], v[122:123], v[134:135]
	v_add_f64 v[120:121], v[120:121], v[132:133]
	v_mul_f64 v[132:133], v[70:71], s[24:25]
	v_fma_f64 v[128:129], v[126:127], s[16:17], -v[128:129]
	v_add_f64 v[130:131], v[130:131], v[138:139]
	v_fma_f64 v[134:135], v[124:125], s[12:13], -v[132:133]
	v_fma_f64 v[132:133], v[124:125], s[12:13], v[132:133]
	v_add_f64 v[128:129], v[128:129], v[136:137]
	v_mul_f64 v[136:137], v[68:69], s[24:25]
	v_add_f64 v[134:135], v[134:135], v[142:143]
	v_add_f64 v[132:133], v[132:133], v[140:141]
	v_mul_f64 v[140:141], v[70:71], s[40:41]
	v_fma_f64 v[138:139], v[126:127], s[12:13], v[136:137]
	v_fma_f64 v[136:137], v[126:127], s[12:13], -v[136:137]
	v_fma_f64 v[142:143], v[124:125], s[22:23], -v[140:141]
	v_fma_f64 v[140:141], v[124:125], s[22:23], v[140:141]
	v_add_f64 v[136:137], v[136:137], v[144:145]
	v_mul_f64 v[144:145], v[68:69], s[40:41]
	v_add_f64 v[138:139], v[138:139], v[146:147]
	v_add_f64 v[142:143], v[142:143], v[150:151]
	;; [unrolled: 1-line block ×3, first 2 shown]
	v_mul_f64 v[148:149], v[70:71], s[38:39]
	v_fma_f64 v[146:147], v[126:127], s[22:23], v[144:145]
	v_fma_f64 v[144:145], v[126:127], s[22:23], -v[144:145]
	v_mul_f64 v[70:71], v[70:71], s[30:31]
	v_fma_f64 v[150:151], v[124:125], s[18:19], -v[148:149]
	v_fma_f64 v[148:149], v[124:125], s[18:19], v[148:149]
	v_add_f64 v[144:145], v[144:145], v[152:153]
	v_mul_f64 v[152:153], v[68:69], s[38:39]
	v_mul_f64 v[68:69], v[68:69], s[30:31]
	v_add_f64 v[146:147], v[146:147], v[154:155]
	v_add_f64 v[150:151], v[150:151], v[158:159]
	;; [unrolled: 1-line block ×3, first 2 shown]
	v_fma_f64 v[156:157], v[124:125], s[2:3], -v[70:71]
	v_fma_f64 v[70:71], v[124:125], s[2:3], v[70:71]
	v_fma_f64 v[158:159], v[126:127], s[2:3], v[68:69]
	v_fma_f64 v[68:69], v[126:127], s[2:3], -v[68:69]
	v_fma_f64 v[154:155], v[126:127], s[18:19], v[152:153]
	v_fma_f64 v[152:153], v[126:127], s[18:19], -v[152:153]
	v_add_f64 v[156:157], v[156:157], v[164:165]
	v_add_f64 v[2:3], v[70:71], v[2:3]
	;; [unrolled: 1-line block ×3, first 2 shown]
	v_add_f64 v[62:63], v[62:63], -v[66:67]
	v_add_f64 v[5:6], v[68:69], v[5:6]
	v_add_f64 v[68:69], v[60:61], v[64:65]
	v_add_f64 v[60:61], v[60:61], -v[64:65]
	v_add_f64 v[152:153], v[152:153], v[160:161]
	v_add_f64 v[154:155], v[154:155], v[162:163]
	;; [unrolled: 1-line block ×3, first 2 shown]
	v_mul_f64 v[64:65], v[62:63], s[20:21]
	v_fma_f64 v[66:67], v[68:69], s[18:19], -v[64:65]
	v_fma_f64 v[64:65], v[68:69], s[18:19], v[64:65]
	v_add_f64 v[66:67], v[66:67], v[122:123]
	v_mul_f64 v[122:123], v[60:61], s[20:21]
	v_add_f64 v[64:65], v[64:65], v[120:121]
	v_fma_f64 v[124:125], v[70:71], s[18:19], v[122:123]
	v_fma_f64 v[120:121], v[70:71], s[18:19], -v[122:123]
	v_mul_f64 v[122:123], v[62:63], s[40:41]
	v_add_f64 v[124:125], v[124:125], v[130:131]
	v_add_f64 v[120:121], v[120:121], v[128:129]
	v_fma_f64 v[126:127], v[68:69], s[22:23], -v[122:123]
	v_fma_f64 v[122:123], v[68:69], s[22:23], v[122:123]
	v_mul_f64 v[128:129], v[60:61], s[40:41]
	v_add_f64 v[126:127], v[126:127], v[134:135]
	v_add_f64 v[122:123], v[122:123], v[132:133]
	v_mul_f64 v[132:133], v[62:63], s[36:37]
	v_fma_f64 v[130:131], v[70:71], s[22:23], v[128:129]
	v_fma_f64 v[128:129], v[70:71], s[22:23], -v[128:129]
	v_fma_f64 v[134:135], v[68:69], s[16:17], -v[132:133]
	v_fma_f64 v[132:133], v[68:69], s[16:17], v[132:133]
	v_add_f64 v[128:129], v[128:129], v[136:137]
	v_mul_f64 v[136:137], v[60:61], s[36:37]
	v_add_f64 v[130:131], v[130:131], v[138:139]
	v_add_f64 v[134:135], v[134:135], v[142:143]
	;; [unrolled: 1-line block ×3, first 2 shown]
	v_mul_f64 v[140:141], v[62:63], s[26:27]
	v_fma_f64 v[138:139], v[70:71], s[16:17], v[136:137]
	v_fma_f64 v[136:137], v[70:71], s[16:17], -v[136:137]
	v_mul_f64 v[62:63], v[62:63], s[24:25]
	v_fma_f64 v[142:143], v[68:69], s[2:3], -v[140:141]
	v_fma_f64 v[140:141], v[68:69], s[2:3], v[140:141]
	v_add_f64 v[136:137], v[136:137], v[144:145]
	v_mul_f64 v[144:145], v[60:61], s[26:27]
	v_mul_f64 v[60:61], v[60:61], s[24:25]
	v_add_f64 v[138:139], v[138:139], v[146:147]
	v_add_f64 v[142:143], v[142:143], v[150:151]
	;; [unrolled: 1-line block ×3, first 2 shown]
	v_fma_f64 v[148:149], v[68:69], s[12:13], -v[62:63]
	v_fma_f64 v[62:63], v[68:69], s[12:13], v[62:63]
	v_fma_f64 v[150:151], v[70:71], s[12:13], v[60:61]
	v_fma_f64 v[60:61], v[70:71], s[12:13], -v[60:61]
	v_fma_f64 v[146:147], v[70:71], s[2:3], v[144:145]
	v_fma_f64 v[144:145], v[70:71], s[2:3], -v[144:145]
	v_add_f64 v[148:149], v[148:149], v[156:157]
	v_add_f64 v[2:3], v[62:63], v[2:3]
	;; [unrolled: 1-line block ×3, first 2 shown]
	v_add_f64 v[54:55], v[54:55], -v[58:59]
	v_add_f64 v[5:6], v[60:61], v[5:6]
	v_add_f64 v[60:61], v[52:53], v[56:57]
	v_add_f64 v[52:53], v[52:53], -v[56:57]
	v_add_f64 v[144:145], v[144:145], v[152:153]
	v_add_f64 v[146:147], v[146:147], v[154:155]
	;; [unrolled: 1-line block ×3, first 2 shown]
	v_mul_f64 v[56:57], v[54:55], s[24:25]
	v_fma_f64 v[58:59], v[60:61], s[12:13], -v[56:57]
	v_fma_f64 v[56:57], v[60:61], s[12:13], v[56:57]
	v_add_f64 v[58:59], v[58:59], v[66:67]
	v_mul_f64 v[66:67], v[52:53], s[24:25]
	v_add_f64 v[56:57], v[56:57], v[64:65]
	v_fma_f64 v[64:65], v[62:63], s[12:13], -v[66:67]
	v_fma_f64 v[68:69], v[62:63], s[12:13], v[66:67]
	v_mul_f64 v[66:67], v[54:55], s[38:39]
	v_add_f64 v[64:65], v[64:65], v[120:121]
	v_mul_f64 v[120:121], v[52:53], s[38:39]
	v_add_f64 v[68:69], v[68:69], v[124:125]
	v_fma_f64 v[70:71], v[60:61], s[18:19], -v[66:67]
	v_fma_f64 v[66:67], v[60:61], s[18:19], v[66:67]
	v_fma_f64 v[124:125], v[62:63], s[18:19], v[120:121]
	v_fma_f64 v[120:121], v[62:63], s[18:19], -v[120:121]
	v_add_f64 v[70:71], v[70:71], v[126:127]
	v_add_f64 v[66:67], v[66:67], v[122:123]
	;; [unrolled: 1-line block ×4, first 2 shown]
	v_mul_f64 v[120:121], v[54:55], s[26:27]
	v_fma_f64 v[122:123], v[60:61], s[2:3], -v[120:121]
	v_fma_f64 v[120:121], v[60:61], s[2:3], v[120:121]
	v_add_f64 v[154:155], v[122:123], v[134:135]
	v_mul_f64 v[122:123], v[52:53], s[26:27]
	v_add_f64 v[156:157], v[120:121], v[132:133]
	v_fma_f64 v[120:121], v[62:63], s[2:3], -v[122:123]
	v_fma_f64 v[124:125], v[62:63], s[2:3], v[122:123]
	v_add_f64 v[158:159], v[120:121], v[136:137]
	v_mul_f64 v[120:121], v[54:55], s[28:29]
	v_mul_f64 v[54:55], v[54:55], s[36:37]
	v_add_f64 v[138:139], v[124:125], v[138:139]
	v_fma_f64 v[122:123], v[60:61], s[22:23], -v[120:121]
	v_fma_f64 v[120:121], v[60:61], s[22:23], v[120:121]
	v_add_f64 v[160:161], v[122:123], v[142:143]
	v_mul_f64 v[122:123], v[52:53], s[28:29]
	v_add_f64 v[162:163], v[120:121], v[140:141]
	v_mul_f64 v[52:53], v[52:53], s[36:37]
	v_fma_f64 v[120:121], v[62:63], s[22:23], -v[122:123]
	v_fma_f64 v[124:125], v[62:63], s[22:23], v[122:123]
	v_add_f64 v[164:165], v[120:121], v[144:145]
	v_fma_f64 v[120:121], v[60:61], s[16:17], -v[54:55]
	v_fma_f64 v[54:55], v[60:61], s[16:17], v[54:55]
	v_add_f64 v[146:147], v[124:125], v[146:147]
	v_add_f64 v[166:167], v[120:121], v[148:149]
	v_fma_f64 v[120:121], v[62:63], s[16:17], v[52:53]
	v_add_f64 v[2:3], v[54:55], v[2:3]
	v_fma_f64 v[52:53], v[62:63], s[16:17], -v[52:53]
	v_add_f64 v[54:55], v[46:47], v[50:51]
	v_add_f64 v[46:47], v[46:47], -v[50:51]
	v_add_f64 v[168:169], v[120:121], v[150:151]
	v_add_f64 v[5:6], v[52:53], v[5:6]
	;; [unrolled: 1-line block ×3, first 2 shown]
	v_add_f64 v[44:45], v[44:45], -v[48:49]
	v_mul_f64 v[48:49], v[46:47], s[28:29]
	v_fma_f64 v[50:51], v[52:53], s[22:23], -v[48:49]
	v_fma_f64 v[48:49], v[52:53], s[22:23], v[48:49]
	v_add_f64 v[124:125], v[50:51], v[58:59]
	v_mul_f64 v[50:51], v[44:45], s[28:29]
	v_add_f64 v[120:121], v[48:49], v[56:57]
	v_fma_f64 v[48:49], v[54:55], s[22:23], -v[50:51]
	v_fma_f64 v[58:59], v[54:55], s[22:23], v[50:51]
	v_add_f64 v[122:123], v[48:49], v[64:65]
	v_mul_f64 v[48:49], v[46:47], s[30:31]
	v_add_f64 v[126:127], v[58:59], v[68:69]
	v_add_f64 v[68:69], v[80:81], -v[108:109]
	v_fma_f64 v[50:51], v[52:53], s[2:3], -v[48:49]
	v_fma_f64 v[48:49], v[52:53], s[2:3], v[48:49]
	v_mul_f64 v[176:177], v[68:69], s[34:35]
	v_mul_f64 v[182:183], v[68:69], s[24:25]
	;; [unrolled: 1-line block ×3, first 2 shown]
	v_add_f64 v[132:133], v[50:51], v[70:71]
	v_mul_f64 v[50:51], v[44:45], s[30:31]
	v_add_f64 v[128:129], v[48:49], v[66:67]
	v_add_f64 v[70:71], v[82:83], -v[110:111]
	v_fma_f64 v[56:57], v[54:55], s[2:3], v[50:51]
	v_fma_f64 v[48:49], v[54:55], s[2:3], -v[50:51]
	v_mul_f64 v[174:175], v[70:71], s[34:35]
	v_add_f64 v[134:135], v[56:57], v[130:131]
	v_add_f64 v[130:131], v[48:49], v[152:153]
	v_mul_f64 v[48:49], v[46:47], s[24:25]
	v_fma_f64 v[180:181], v[186:187], s[16:17], v[174:175]
	v_fma_f64 v[50:51], v[52:53], s[12:13], -v[48:49]
	v_fma_f64 v[48:49], v[52:53], s[12:13], v[48:49]
	v_add_f64 v[140:141], v[50:51], v[154:155]
	v_mul_f64 v[50:51], v[44:45], s[24:25]
	v_add_f64 v[136:137], v[48:49], v[156:157]
	v_fma_f64 v[56:57], v[54:55], s[12:13], v[50:51]
	v_fma_f64 v[48:49], v[54:55], s[12:13], -v[50:51]
	v_add_f64 v[142:143], v[56:57], v[138:139]
	v_add_f64 v[138:139], v[48:49], v[158:159]
	v_mul_f64 v[48:49], v[46:47], s[36:37]
	v_mul_f64 v[46:47], v[46:47], s[20:21]
	v_fma_f64 v[50:51], v[52:53], s[16:17], -v[48:49]
	v_fma_f64 v[48:49], v[52:53], s[16:17], v[48:49]
	v_add_f64 v[144:145], v[50:51], v[160:161]
	v_mul_f64 v[50:51], v[44:45], s[36:37]
	v_add_f64 v[148:149], v[48:49], v[162:163]
	v_mul_f64 v[44:45], v[44:45], s[20:21]
	v_fma_f64 v[48:49], v[54:55], s[16:17], -v[50:51]
	v_fma_f64 v[56:57], v[54:55], s[16:17], v[50:51]
	v_add_f64 v[150:151], v[48:49], v[164:165]
	v_fma_f64 v[48:49], v[52:53], s[18:19], -v[46:47]
	v_fma_f64 v[46:47], v[52:53], s[18:19], v[46:47]
	v_add_f64 v[146:147], v[56:57], v[146:147]
	v_add_f64 v[152:153], v[48:49], v[166:167]
	;; [unrolled: 1-line block ×3, first 2 shown]
	v_fma_f64 v[2:3], v[54:55], s[18:19], -v[44:45]
	v_fma_f64 v[48:49], v[54:55], s[18:19], v[44:45]
	v_add_f64 v[158:159], v[2:3], v[5:6]
	v_add_f64 v[5:6], v[78:79], -v[114:115]
	v_add_f64 v[154:155], v[48:49], v[168:169]
	v_add_f64 v[168:169], v[76:77], v[112:113]
	v_add_f64 v[2:3], v[76:77], -v[112:113]
	v_mul_f64 v[160:161], v[5:6], s[26:27]
	v_mul_f64 v[164:165], v[5:6], s[34:35]
	;; [unrolled: 1-line block ×8, first 2 shown]
	v_fma_f64 v[44:45], v[168:169], s[2:3], v[160:161]
	v_fma_f64 v[48:49], v[168:169], s[16:17], v[164:165]
	;; [unrolled: 1-line block ×3, first 2 shown]
	v_fma_f64 v[46:47], v[170:171], s[2:3], -v[162:163]
	v_fma_f64 v[50:51], v[170:171], s[16:17], -v[172:173]
	;; [unrolled: 1-line block ×4, first 2 shown]
	v_fma_f64 v[56:57], v[168:169], s[12:13], v[56:57]
	v_add_f64 v[44:45], v[72:73], v[44:45]
	v_add_f64 v[48:49], v[72:73], v[48:49]
	;; [unrolled: 1-line block ×7, first 2 shown]
	v_fma_f64 v[62:63], v[170:171], s[12:13], v[60:61]
	v_add_f64 v[44:45], v[180:181], v[44:45]
	v_fma_f64 v[180:181], v[188:189], s[16:17], -v[176:177]
	v_add_f64 v[56:57], v[72:73], v[56:57]
	v_fma_f64 v[60:61], v[170:171], s[12:13], -v[60:61]
	v_mul_f64 v[5:6], v[5:6], s[28:29]
	v_mul_f64 v[2:3], v[2:3], s[28:29]
	v_add_f64 v[62:63], v[74:75], v[62:63]
	v_add_f64 v[46:47], v[180:181], v[46:47]
	v_mul_f64 v[180:181], v[70:71], s[24:25]
	v_add_f64 v[60:61], v[74:75], v[60:61]
	v_fma_f64 v[64:65], v[168:169], s[22:23], -v[5:6]
	v_fma_f64 v[5:6], v[168:169], s[22:23], v[5:6]
	v_fma_f64 v[66:67], v[170:171], s[22:23], v[2:3]
	v_fma_f64 v[2:3], v[170:171], s[22:23], -v[2:3]
	v_fma_f64 v[184:185], v[186:187], s[12:13], v[180:181]
	v_add_f64 v[64:65], v[72:73], v[64:65]
	v_add_f64 v[5:6], v[72:73], v[5:6]
	;; [unrolled: 1-line block ×5, first 2 shown]
	v_fma_f64 v[184:185], v[188:189], s[12:13], -v[182:183]
	v_add_f64 v[50:51], v[184:185], v[50:51]
	v_mul_f64 v[184:185], v[70:71], s[40:41]
	v_fma_f64 v[190:191], v[186:187], s[22:23], v[184:185]
	v_add_f64 v[52:53], v[190:191], v[52:53]
	v_fma_f64 v[190:191], v[188:189], s[22:23], -v[194:195]
	v_add_f64 v[54:55], v[190:191], v[54:55]
	v_mul_f64 v[190:191], v[70:71], s[38:39]
	v_mul_f64 v[70:71], v[70:71], s[30:31]
	v_fma_f64 v[192:193], v[186:187], s[18:19], -v[190:191]
	v_fma_f64 v[190:191], v[186:187], s[18:19], v[190:191]
	v_add_f64 v[58:59], v[192:193], v[58:59]
	v_mul_f64 v[192:193], v[68:69], s[38:39]
	v_add_f64 v[56:57], v[190:191], v[56:57]
	v_mul_f64 v[68:69], v[68:69], s[30:31]
	v_fma_f64 v[190:191], v[188:189], s[18:19], -v[192:193]
	v_fma_f64 v[196:197], v[188:189], s[18:19], v[192:193]
	v_add_f64 v[60:61], v[190:191], v[60:61]
	v_fma_f64 v[190:191], v[186:187], s[2:3], -v[70:71]
	v_fma_f64 v[70:71], v[186:187], s[2:3], v[70:71]
	v_add_f64 v[62:63], v[196:197], v[62:63]
	v_add_f64 v[64:65], v[190:191], v[64:65]
	v_fma_f64 v[190:191], v[188:189], s[2:3], v[68:69]
	v_add_f64 v[5:6], v[70:71], v[5:6]
	v_fma_f64 v[68:69], v[188:189], s[2:3], -v[68:69]
	v_add_f64 v[70:71], v[86:87], -v[106:107]
	v_add_f64 v[66:67], v[190:191], v[66:67]
	v_add_f64 v[2:3], v[68:69], v[2:3]
	v_add_f64 v[68:69], v[84:85], -v[104:105]
	v_mul_f64 v[190:191], v[70:71], s[20:21]
	v_mul_f64 v[192:193], v[68:69], s[20:21]
	v_fma_f64 v[196:197], v[204:205], s[18:19], v[190:191]
	v_mul_f64 v[198:199], v[68:69], s[40:41]
	v_mul_f64 v[202:203], v[68:69], s[36:37]
	v_add_f64 v[44:45], v[196:197], v[44:45]
	v_fma_f64 v[196:197], v[206:207], s[18:19], -v[192:193]
	v_add_f64 v[46:47], v[196:197], v[46:47]
	v_mul_f64 v[196:197], v[70:71], s[40:41]
	v_fma_f64 v[200:201], v[204:205], s[22:23], v[196:197]
	v_add_f64 v[48:49], v[200:201], v[48:49]
	v_fma_f64 v[200:201], v[206:207], s[22:23], -v[198:199]
	v_add_f64 v[50:51], v[200:201], v[50:51]
	v_mul_f64 v[200:201], v[70:71], s[36:37]
	v_fma_f64 v[208:209], v[204:205], s[16:17], v[200:201]
	v_add_f64 v[52:53], v[208:209], v[52:53]
	v_fma_f64 v[208:209], v[206:207], s[16:17], -v[202:203]
	v_add_f64 v[54:55], v[208:209], v[54:55]
	v_mul_f64 v[208:209], v[70:71], s[26:27]
	v_mul_f64 v[70:71], v[70:71], s[24:25]
	v_fma_f64 v[210:211], v[204:205], s[2:3], -v[208:209]
	v_fma_f64 v[208:209], v[204:205], s[2:3], v[208:209]
	v_add_f64 v[58:59], v[210:211], v[58:59]
	v_mul_f64 v[210:211], v[68:69], s[26:27]
	v_add_f64 v[56:57], v[208:209], v[56:57]
	v_mul_f64 v[68:69], v[68:69], s[24:25]
	v_fma_f64 v[208:209], v[206:207], s[2:3], -v[210:211]
	v_fma_f64 v[212:213], v[206:207], s[2:3], v[210:211]
	v_add_f64 v[60:61], v[208:209], v[60:61]
	v_fma_f64 v[208:209], v[204:205], s[12:13], -v[70:71]
	v_fma_f64 v[70:71], v[204:205], s[12:13], v[70:71]
	v_add_f64 v[62:63], v[212:213], v[62:63]
	v_add_f64 v[64:65], v[208:209], v[64:65]
	v_fma_f64 v[208:209], v[206:207], s[12:13], v[68:69]
	v_add_f64 v[5:6], v[70:71], v[5:6]
	v_fma_f64 v[68:69], v[206:207], s[12:13], -v[68:69]
	v_add_f64 v[70:71], v[90:91], -v[102:103]
	v_add_f64 v[66:67], v[208:209], v[66:67]
	v_add_f64 v[2:3], v[68:69], v[2:3]
	v_add_f64 v[68:69], v[88:89], -v[100:101]
	v_mul_f64 v[208:209], v[70:71], s[24:25]
	v_mul_f64 v[210:211], v[68:69], s[24:25]
	v_fma_f64 v[212:213], v[220:221], s[12:13], v[208:209]
	v_mul_f64 v[214:215], v[68:69], s[38:39]
	v_mul_f64 v[218:219], v[68:69], s[26:27]
	v_add_f64 v[44:45], v[212:213], v[44:45]
	v_fma_f64 v[212:213], v[222:223], s[12:13], -v[210:211]
	v_add_f64 v[46:47], v[212:213], v[46:47]
	v_mul_f64 v[212:213], v[70:71], s[38:39]
	v_fma_f64 v[216:217], v[220:221], s[18:19], v[212:213]
	v_add_f64 v[48:49], v[216:217], v[48:49]
	v_fma_f64 v[216:217], v[222:223], s[18:19], -v[214:215]
	v_add_f64 v[50:51], v[216:217], v[50:51]
	v_mul_f64 v[216:217], v[70:71], s[26:27]
	v_fma_f64 v[224:225], v[220:221], s[2:3], v[216:217]
	v_add_f64 v[52:53], v[224:225], v[52:53]
	v_fma_f64 v[224:225], v[222:223], s[2:3], -v[218:219]
	v_add_f64 v[54:55], v[224:225], v[54:55]
	v_mul_f64 v[224:225], v[70:71], s[28:29]
	v_fma_f64 v[226:227], v[220:221], s[22:23], -v[224:225]
	v_fma_f64 v[224:225], v[220:221], s[22:23], v[224:225]
	v_add_f64 v[241:242], v[226:227], v[58:59]
	v_mul_f64 v[58:59], v[68:69], s[28:29]
	v_add_f64 v[243:244], v[224:225], v[56:57]
	v_fma_f64 v[56:57], v[222:223], s[22:23], -v[58:59]
	v_fma_f64 v[226:227], v[222:223], s[22:23], v[58:59]
	v_add_f64 v[245:246], v[56:57], v[60:61]
	v_mul_f64 v[56:57], v[70:71], s[36:37]
	v_add_f64 v[70:71], v[94:95], -v[98:99]
	v_add_f64 v[62:63], v[226:227], v[62:63]
	v_fma_f64 v[58:59], v[220:221], s[16:17], -v[56:57]
	v_fma_f64 v[56:57], v[220:221], s[16:17], v[56:57]
	v_mul_f64 v[224:225], v[70:71], s[28:29]
	v_mul_f64 v[230:231], v[70:71], s[30:31]
	v_mul_f64 v[234:235], v[70:71], s[24:25]
	v_add_f64 v[64:65], v[58:59], v[64:65]
	v_mul_f64 v[58:59], v[68:69], s[36:37]
	v_add_f64 v[5:6], v[56:57], v[5:6]
	v_add_f64 v[68:69], v[92:93], -v[96:97]
	v_fma_f64 v[56:57], v[222:223], s[16:17], -v[58:59]
	v_fma_f64 v[60:61], v[222:223], s[16:17], v[58:59]
	v_mul_f64 v[226:227], v[68:69], s[28:29]
	v_mul_f64 v[232:233], v[68:69], s[30:31]
	;; [unrolled: 1-line block ×3, first 2 shown]
	v_add_f64 v[2:3], v[56:57], v[2:3]
	v_fma_f64 v[56:57], v[238:239], s[22:23], v[224:225]
	v_add_f64 v[66:67], v[60:61], v[66:67]
	v_mul_f64 v[60:61], v[70:71], s[36:37]
	v_mul_f64 v[70:71], v[70:71], s[20:21]
	v_add_f64 v[44:45], v[56:57], v[44:45]
	v_fma_f64 v[56:57], v[228:229], s[22:23], -v[226:227]
	v_add_f64 v[46:47], v[56:57], v[46:47]
	v_fma_f64 v[56:57], v[238:239], s[2:3], v[230:231]
	v_add_f64 v[48:49], v[56:57], v[48:49]
	v_fma_f64 v[56:57], v[228:229], s[2:3], -v[232:233]
	v_add_f64 v[50:51], v[56:57], v[50:51]
	v_fma_f64 v[56:57], v[238:239], s[12:13], v[234:235]
	v_add_f64 v[56:57], v[56:57], v[52:53]
	v_fma_f64 v[52:53], v[228:229], s[12:13], -v[236:237]
	v_add_f64 v[58:59], v[52:53], v[54:55]
	v_fma_f64 v[52:53], v[238:239], s[16:17], -v[60:61]
	v_fma_f64 v[60:61], v[238:239], s[16:17], v[60:61]
	v_add_f64 v[52:53], v[52:53], v[241:242]
	v_mul_f64 v[241:242], v[68:69], s[36:37]
	v_add_f64 v[60:61], v[60:61], v[243:244]
	v_fma_f64 v[54:55], v[228:229], s[16:17], v[241:242]
	v_add_f64 v[54:55], v[54:55], v[62:63]
	v_fma_f64 v[62:63], v[228:229], s[16:17], -v[241:242]
	v_fma_f64 v[241:242], v[238:239], s[18:19], -v[70:71]
	v_add_f64 v[62:63], v[62:63], v[245:246]
	v_add_f64 v[64:65], v[241:242], v[64:65]
	v_mul_f64 v[241:242], v[68:69], s[20:21]
	v_fma_f64 v[68:69], v[228:229], s[18:19], v[241:242]
	v_add_f64 v[66:67], v[68:69], v[66:67]
	v_fma_f64 v[68:69], v[238:239], s[18:19], v[70:71]
	v_add_f64 v[68:69], v[68:69], v[5:6]
	v_fma_f64 v[5:6], v[228:229], s[18:19], -v[241:242]
	v_add_f64 v[70:71], v[5:6], v[2:3]
	v_mul_lo_u16_e32 v2, 11, v9
	v_lshlrev_b32_e32 v6, 4, v2
	v_mul_u32_u24_e32 v2, 11, v240
	ds_write_b128 v6, v[116:119]
	ds_write_b128 v6, v[124:127] offset:16
	ds_write_b128 v6, v[132:135] offset:32
	;; [unrolled: 1-line block ×10, first 2 shown]
	buffer_store_dword v2, off, s[44:47], 0 offset:196 ; 4-byte Folded Spill
	s_and_saveexec_b64 s[20:21], vcc
	s_cbranch_execz .LBB0_7
; %bb.6:
	v_add_f64 v[78:79], v[74:75], v[78:79]
	v_add_f64 v[76:77], v[72:73], v[76:77]
	v_mul_f64 v[120:121], v[170:171], s[16:17]
	v_mul_f64 v[124:125], v[170:171], s[18:19]
	;; [unrolled: 1-line block ×6, first 2 shown]
	v_add_f64 v[78:79], v[78:79], v[82:83]
	v_add_f64 v[76:77], v[76:77], v[80:81]
	v_mul_f64 v[132:133], v[188:189], s[12:13]
	v_mul_f64 v[136:137], v[188:189], s[22:23]
	v_add_f64 v[124:125], v[178:179], v[124:125]
	v_add_f64 v[120:121], v[172:173], v[120:121]
	v_mul_f64 v[126:127], v[186:187], s[16:17]
	v_mul_f64 v[128:129], v[188:189], s[16:17]
	v_add_f64 v[78:79], v[78:79], v[86:87]
	v_add_f64 v[76:77], v[76:77], v[84:85]
	;; [unrolled: 1-line block ×3, first 2 shown]
	v_add_f64 v[2:3], v[2:3], -v[160:161]
	v_mul_f64 v[130:131], v[186:187], s[12:13]
	v_add_f64 v[122:123], v[122:123], -v[166:167]
	v_mul_f64 v[134:135], v[186:187], s[22:23]
	v_mul_f64 v[144:145], v[206:207], s[22:23]
	v_add_f64 v[78:79], v[78:79], v[90:91]
	v_add_f64 v[76:77], v[76:77], v[88:89]
	v_mul_f64 v[148:149], v[206:207], s[16:17]
	v_add_f64 v[136:137], v[194:195], v[136:137]
	v_add_f64 v[124:125], v[74:75], v[124:125]
	;; [unrolled: 1-line block ×4, first 2 shown]
	v_mul_f64 v[138:139], v[204:205], s[18:19]
	v_add_f64 v[78:79], v[78:79], v[94:95]
	v_add_f64 v[76:77], v[76:77], v[92:93]
	v_add_f64 v[92:93], v[118:119], -v[164:165]
	v_mul_f64 v[140:141], v[206:207], s[18:19]
	v_add_f64 v[118:119], v[176:177], v[128:129]
	v_add_f64 v[74:75], v[74:75], v[116:117]
	v_add_f64 v[116:117], v[126:127], -v[174:175]
	v_add_f64 v[2:3], v[72:73], v[2:3]
	v_add_f64 v[78:79], v[78:79], v[98:99]
	;; [unrolled: 1-line block ×3, first 2 shown]
	v_mul_f64 v[142:143], v[204:205], s[22:23]
	v_add_f64 v[122:123], v[72:73], v[122:123]
	v_add_f64 v[94:95], v[130:131], -v[180:181]
	v_add_f64 v[72:73], v[72:73], v[92:93]
	v_mul_f64 v[146:147], v[204:205], s[16:17]
	v_add_f64 v[82:83], v[134:135], -v[184:185]
	v_mul_f64 v[156:157], v[222:223], s[18:19]
	v_mul_f64 v[168:169], v[222:223], s[2:3]
	v_add_f64 v[148:149], v[202:203], v[148:149]
	v_add_f64 v[124:125], v[136:137], v[124:125]
	;; [unrolled: 1-line block ×6, first 2 shown]
	v_mul_f64 v[150:151], v[220:221], s[12:13]
	v_mul_f64 v[152:153], v[222:223], s[12:13]
	v_add_f64 v[96:97], v[192:193], v[140:141]
	v_add_f64 v[74:75], v[118:119], v[74:75]
	v_add_f64 v[98:99], v[138:139], -v[190:191]
	v_add_f64 v[2:3], v[116:117], v[2:3]
	v_mul_f64 v[154:155], v[220:221], s[18:19]
	v_add_f64 v[92:93], v[142:143], -v[196:197]
	v_add_f64 v[72:73], v[94:95], v[72:73]
	v_mul_f64 v[158:159], v[220:221], s[2:3]
	;; [unrolled: 3-line block ×3, first 2 shown]
	v_mul_f64 v[172:173], v[228:229], s[12:13]
	v_add_f64 v[80:81], v[218:219], v[168:169]
	v_add_f64 v[124:125], v[148:149], v[124:125]
	;; [unrolled: 1-line block ×6, first 2 shown]
	v_mul_f64 v[170:171], v[238:239], s[22:23]
	v_mul_f64 v[178:179], v[228:229], s[22:23]
	v_add_f64 v[100:101], v[210:211], v[152:153]
	v_add_f64 v[74:75], v[96:97], v[74:75]
	v_add_f64 v[96:97], v[150:151], -v[208:209]
	v_add_f64 v[2:3], v[98:99], v[2:3]
	v_mul_f64 v[186:187], v[238:239], s[2:3]
	v_add_f64 v[94:95], v[154:155], -v[212:213]
	v_add_f64 v[72:73], v[92:93], v[72:73]
	v_mul_f64 v[194:195], v[238:239], s[12:13]
	v_add_f64 v[90:91], v[158:159], -v[216:217]
	v_add_f64 v[82:83], v[86:87], v[82:83]
	v_add_f64 v[84:85], v[236:237], v[172:173]
	;; [unrolled: 1-line block ×9, first 2 shown]
	v_add_f64 v[102:103], v[170:171], -v[224:225]
	v_add_f64 v[2:3], v[96:97], v[2:3]
	v_add_f64 v[92:93], v[186:187], -v[230:231]
	v_add_f64 v[72:73], v[94:95], v[72:73]
	;; [unrolled: 2-line block ×3, first 2 shown]
	v_add_f64 v[74:75], v[84:85], v[80:81]
	v_add_f64 v[78:79], v[86:87], v[120:121]
	;; [unrolled: 1-line block ×8, first 2 shown]
	v_mul_u32_u24_e32 v2, 11, v240
	v_lshlrev_b32_e32 v2, 4, v2
	ds_write_b128 v2, v[84:87]
	ds_write_b128 v2, v[80:83] offset:16
	ds_write_b128 v2, v[76:79] offset:32
	;; [unrolled: 1-line block ×10, first 2 shown]
.LBB0_7:
	s_or_b64 exec, exec, s[20:21]
	v_mov_b32_e32 v2, s15
	v_addc_co_u32_e64 v222, s[0:1], 0, v2, s[0:1]
	s_movk_i32 s0, 0x6e
	v_add_co_u32_e64 v224, s[0:1], s0, v9
	s_movk_i32 s0, 0x75
	v_mul_lo_u16_sdwa v2, v9, s0 dst_sel:DWORD dst_unused:UNUSED_PAD src0_sel:BYTE_0 src1_sel:DWORD
	v_sub_u16_sdwa v3, v9, v2 dst_sel:DWORD dst_unused:UNUSED_PAD src0_sel:DWORD src1_sel:BYTE_1
	v_lshrrev_b16_e32 v3, 1, v3
	v_and_b32_e32 v3, 0x7f, v3
	v_add_u16_sdwa v2, v3, v2 dst_sel:DWORD dst_unused:UNUSED_PAD src0_sel:DWORD src1_sel:BYTE_1
	v_lshrrev_b16_e32 v2, 3, v2
	v_mul_lo_u16_e32 v3, 11, v2
	v_sub_u16_e32 v3, v9, v3
	v_and_b32_e32 v3, 0xff, v3
	v_lshlrev_b32_e32 v5, 6, v3
	s_waitcnt lgkmcnt(0)
	; wave barrier
	s_waitcnt lgkmcnt(0)
	ds_read_b128 v[138:141], v4
	ds_read_b128 v[88:91], v4 offset:2640
	ds_read_b128 v[92:95], v4 offset:5280
	;; [unrolled: 1-line block ×14, first 2 shown]
	global_load_dwordx4 v[72:75], v5, s[4:5] offset:48
	global_load_dwordx4 v[76:79], v5, s[4:5] offset:32
	;; [unrolled: 1-line block ×3, first 2 shown]
	global_load_dwordx4 v[84:87], v5, s[4:5]
	v_mul_lo_u16_sdwa v5, v240, s0 dst_sel:DWORD dst_unused:UNUSED_PAD src0_sel:BYTE_0 src1_sel:DWORD
	v_sub_u16_sdwa v7, v240, v5 dst_sel:DWORD dst_unused:UNUSED_PAD src0_sel:DWORD src1_sel:BYTE_1
	v_lshrrev_b16_e32 v7, 1, v7
	v_and_b32_e32 v7, 0x7f, v7
	v_add_u16_sdwa v5, v7, v5 dst_sel:DWORD dst_unused:UNUSED_PAD src0_sel:DWORD src1_sel:BYTE_1
	v_lshrrev_b16_e32 v5, 3, v5
	v_mul_lo_u16_e32 v7, 11, v5
	v_sub_u16_e32 v7, v240, v7
	v_and_b32_e32 v192, 0xff, v7
	v_lshlrev_b32_e32 v7, 6, v192
	s_mov_b32 s14, 0x134454ff
	s_mov_b32 s15, 0x3fee6f0e
	;; [unrolled: 1-line block ×10, first 2 shown]
	v_mul_u32_u24_e32 v2, 55, v2
	v_add_lshl_u32 v2, v2, v3, 4
	v_lshlrev_b32_e32 v3, 6, v9
	v_mov_b32_e32 v225, s5
	v_lshlrev_b32_e32 v223, 5, v9
	s_waitcnt vmcnt(0) lgkmcnt(13)
	v_mul_f64 v[104:105], v[90:91], v[86:87]
	v_fma_f64 v[158:159], v[88:89], v[84:85], -v[104:105]
	v_mul_f64 v[88:89], v[88:89], v[86:87]
	v_fma_f64 v[144:145], v[90:91], v[84:85], v[88:89]
	s_waitcnt lgkmcnt(12)
	v_mul_f64 v[88:89], v[94:95], v[82:83]
	v_fma_f64 v[134:135], v[92:93], v[80:81], -v[88:89]
	v_mul_f64 v[88:89], v[92:93], v[82:83]
	v_add_f64 v[136:137], v[158:159], -v[134:135]
	v_fma_f64 v[148:149], v[94:95], v[80:81], v[88:89]
	s_waitcnt lgkmcnt(11)
	v_mul_f64 v[88:89], v[98:99], v[78:79]
	v_fma_f64 v[154:155], v[96:97], v[76:77], -v[88:89]
	v_mul_f64 v[88:89], v[96:97], v[78:79]
	v_fma_f64 v[150:151], v[98:99], v[76:77], v[88:89]
	s_waitcnt lgkmcnt(10)
	v_mul_f64 v[88:89], v[102:103], v[74:75]
	v_fma_f64 v[190:191], v[100:101], v[72:73], -v[88:89]
	v_mul_f64 v[88:89], v[100:101], v[74:75]
	v_add_f64 v[146:147], v[190:191], -v[154:155]
	v_fma_f64 v[152:153], v[102:103], v[72:73], v[88:89]
	global_load_dwordx4 v[88:91], v7, s[4:5] offset:48
	global_load_dwordx4 v[92:95], v7, s[4:5] offset:32
	;; [unrolled: 1-line block ×3, first 2 shown]
	global_load_dwordx4 v[104:107], v7, s[4:5]
	v_mul_lo_u16_sdwa v7, v224, s0 dst_sel:DWORD dst_unused:UNUSED_PAD src0_sel:BYTE_0 src1_sel:DWORD
	v_sub_u16_sdwa v8, v224, v7 dst_sel:DWORD dst_unused:UNUSED_PAD src0_sel:DWORD src1_sel:BYTE_1
	v_lshrrev_b16_e32 v8, 1, v8
	v_and_b32_e32 v8, 0x7f, v8
	v_add_u16_sdwa v7, v8, v7 dst_sel:DWORD dst_unused:UNUSED_PAD src0_sel:DWORD src1_sel:BYTE_1
	v_lshrrev_b16_e32 v193, 3, v7
	v_mul_lo_u16_e32 v7, 11, v193
	v_sub_u16_e32 v7, v224, v7
	v_and_b32_e32 v194, 0xff, v7
	v_lshlrev_b32_e32 v7, 6, v194
	v_add_f64 v[142:143], v[144:145], -v[152:153]
	v_add_f64 v[136:137], v[136:137], v[146:147]
	v_add_f64 v[146:147], v[134:135], -v[158:159]
	v_add_co_u32_e64 v226, s[0:1], s4, v3
	v_addc_co_u32_e64 v227, s[0:1], 0, v225, s[0:1]
	s_movk_i32 s0, 0x95
	s_waitcnt vmcnt(0) lgkmcnt(8)
	v_mul_f64 v[100:101], v[110:111], v[106:107]
	v_fma_f64 v[156:157], v[108:109], v[104:105], -v[100:101]
	v_mul_f64 v[100:101], v[108:109], v[106:107]
	v_fma_f64 v[178:179], v[110:111], v[104:105], v[100:101]
	s_waitcnt lgkmcnt(7)
	v_mul_f64 v[100:101], v[114:115], v[98:99]
	v_fma_f64 v[160:161], v[112:113], v[96:97], -v[100:101]
	v_mul_f64 v[100:101], v[112:113], v[98:99]
	v_fma_f64 v[180:181], v[114:115], v[96:97], v[100:101]
	s_waitcnt lgkmcnt(6)
	v_mul_f64 v[100:101], v[118:119], v[94:95]
	v_fma_f64 v[186:187], v[116:117], v[92:93], -v[100:101]
	v_mul_f64 v[100:101], v[116:117], v[94:95]
	v_fma_f64 v[182:183], v[118:119], v[92:93], v[100:101]
	s_waitcnt lgkmcnt(5)
	v_mul_f64 v[100:101], v[130:131], v[90:91]
	v_fma_f64 v[188:189], v[128:129], v[88:89], -v[100:101]
	v_mul_f64 v[100:101], v[128:129], v[90:91]
	v_fma_f64 v[184:185], v[130:131], v[88:89], v[100:101]
	global_load_dwordx4 v[100:103], v7, s[4:5] offset:48
	global_load_dwordx4 v[108:111], v7, s[4:5] offset:32
	;; [unrolled: 1-line block ×3, first 2 shown]
	global_load_dwordx4 v[116:119], v7, s[4:5]
	v_add_f64 v[130:131], v[134:135], v[154:155]
	s_waitcnt lgkmcnt(0)
	; wave barrier
	s_waitcnt lgkmcnt(0)
	v_mov_b32_e32 v7, 6
	v_fma_f64 v[130:131], v[130:131], -0.5, v[138:139]
	v_fma_f64 v[132:133], v[142:143], s[14:15], v[130:131]
	v_fma_f64 v[130:131], v[142:143], s[16:17], v[130:131]
	s_waitcnt vmcnt(0)
	v_mul_f64 v[128:129], v[164:165], v[118:119]
	v_fma_f64 v[170:171], v[162:163], v[116:117], -v[128:129]
	v_mul_f64 v[128:129], v[162:163], v[118:119]
	v_fma_f64 v[162:163], v[164:165], v[116:117], v[128:129]
	v_mul_f64 v[128:129], v[168:169], v[114:115]
	v_fma_f64 v[172:173], v[166:167], v[112:113], -v[128:129]
	v_mul_f64 v[128:129], v[166:167], v[114:115]
	v_fma_f64 v[164:165], v[168:169], v[112:113], v[128:129]
	v_mul_f64 v[128:129], v[197:198], v[110:111]
	v_fma_f64 v[174:175], v[195:196], v[108:109], -v[128:129]
	v_mul_f64 v[128:129], v[195:196], v[110:111]
	v_add_f64 v[195:196], v[148:149], -v[150:151]
	v_fma_f64 v[166:167], v[197:198], v[108:109], v[128:129]
	v_fma_f64 v[132:133], v[195:196], s[12:13], v[132:133]
	;; [unrolled: 1-line block ×3, first 2 shown]
	v_mul_f64 v[128:129], v[201:202], v[102:103]
	v_add_f64 v[197:198], v[154:155], -v[190:191]
	v_fma_f64 v[132:133], v[136:137], s[2:3], v[132:133]
	v_fma_f64 v[136:137], v[136:137], s[2:3], v[130:131]
	v_add_f64 v[130:131], v[158:159], v[190:191]
	v_fma_f64 v[176:177], v[199:200], v[100:101], -v[128:129]
	v_mul_f64 v[128:129], v[199:200], v[102:103]
	v_add_f64 v[197:198], v[146:147], v[197:198]
	v_fma_f64 v[130:131], v[130:131], -0.5, v[138:139]
	v_fma_f64 v[168:169], v[201:202], v[100:101], v[128:129]
	v_add_f64 v[128:129], v[138:139], v[158:159]
	v_add_f64 v[158:159], v[158:159], -v[190:191]
	v_fma_f64 v[138:139], v[195:196], s[16:17], v[130:131]
	v_fma_f64 v[130:131], v[195:196], s[14:15], v[130:131]
	v_add_f64 v[195:196], v[152:153], -v[150:151]
	v_add_f64 v[128:129], v[128:129], v[134:135]
	v_fma_f64 v[138:139], v[142:143], s[12:13], v[138:139]
	v_fma_f64 v[130:131], v[142:143], s[18:19], v[130:131]
	v_add_f64 v[128:129], v[128:129], v[154:155]
	v_add_f64 v[154:155], v[134:135], -v[154:155]
	v_fma_f64 v[146:147], v[197:198], s[2:3], v[138:139]
	v_add_f64 v[138:139], v[148:149], v[150:151]
	v_fma_f64 v[142:143], v[197:198], s[2:3], v[130:131]
	v_add_f64 v[128:129], v[128:129], v[190:191]
	v_add_f64 v[130:131], v[140:141], v[144:145]
	v_add_f64 v[197:198], v[186:187], -v[188:189]
	v_fma_f64 v[138:139], v[138:139], -0.5, v[140:141]
	v_add_f64 v[130:131], v[130:131], v[148:149]
	v_fma_f64 v[190:191], v[158:159], s[16:17], v[138:139]
	v_fma_f64 v[138:139], v[158:159], s[14:15], v[138:139]
	v_add_f64 v[130:131], v[130:131], v[150:151]
	v_fma_f64 v[134:135], v[154:155], s[18:19], v[190:191]
	v_add_f64 v[190:191], v[144:145], -v[148:149]
	v_fma_f64 v[138:139], v[154:155], s[12:13], v[138:139]
	v_add_f64 v[130:131], v[130:131], v[152:153]
	v_add_f64 v[190:191], v[190:191], v[195:196]
	v_add_f64 v[195:196], v[188:189], -v[186:187]
	v_fma_f64 v[134:135], v[190:191], s[2:3], v[134:135]
	v_fma_f64 v[138:139], v[190:191], s[2:3], v[138:139]
	v_add_f64 v[190:191], v[144:145], v[152:153]
	v_add_f64 v[144:145], v[148:149], -v[144:145]
	v_add_f64 v[148:149], v[150:151], -v[152:153]
	v_add_f64 v[152:153], v[178:179], -v[184:185]
	v_fma_f64 v[140:141], v[190:191], -0.5, v[140:141]
	v_add_f64 v[144:145], v[144:145], v[148:149]
	v_fma_f64 v[190:191], v[154:155], s[14:15], v[140:141]
	v_fma_f64 v[140:141], v[154:155], s[16:17], v[140:141]
	;; [unrolled: 1-line block ×4, first 2 shown]
	v_add_f64 v[158:159], v[156:157], -v[160:161]
	v_fma_f64 v[148:149], v[144:145], s[2:3], v[190:191]
	v_fma_f64 v[144:145], v[144:145], s[2:3], v[140:141]
	v_add_f64 v[140:141], v[124:125], v[156:157]
	v_add_f64 v[190:191], v[180:181], -v[182:183]
	v_add_f64 v[195:196], v[158:159], v[195:196]
	ds_write_b128 v2, v[128:131]
	ds_write_b128 v2, v[132:135] offset:176
	ds_write_b128 v2, v[146:149] offset:352
	;; [unrolled: 1-line block ×3, first 2 shown]
	buffer_store_dword v2, off, s[44:47], 0 offset:188 ; 4-byte Folded Spill
	ds_write_b128 v2, v[136:139] offset:704
	v_mul_u32_u24_e32 v2, 55, v5
	v_add_f64 v[140:141], v[140:141], v[160:161]
	v_add_lshl_u32 v2, v2, v192, 4
	v_add_f64 v[140:141], v[140:141], v[186:187]
	v_add_f64 v[150:151], v[140:141], v[188:189]
	;; [unrolled: 1-line block ×3, first 2 shown]
	v_add_f64 v[186:187], v[160:161], -v[186:187]
	v_fma_f64 v[140:141], v[140:141], -0.5, v[124:125]
	v_fma_f64 v[154:155], v[152:153], s[14:15], v[140:141]
	v_fma_f64 v[140:141], v[152:153], s[16:17], v[140:141]
	;; [unrolled: 1-line block ×6, first 2 shown]
	v_add_f64 v[140:141], v[156:157], v[188:189]
	v_add_f64 v[195:196], v[160:161], -v[156:157]
	v_add_f64 v[188:189], v[156:157], -v[188:189]
	;; [unrolled: 1-line block ×3, first 2 shown]
	v_fma_f64 v[140:141], v[140:141], -0.5, v[124:125]
	v_add_f64 v[195:196], v[195:196], v[197:198]
	v_fma_f64 v[124:125], v[190:191], s[16:17], v[140:141]
	v_fma_f64 v[140:141], v[190:191], s[14:15], v[140:141]
	v_add_f64 v[190:191], v[184:185], -v[182:183]
	v_fma_f64 v[124:125], v[152:153], s[12:13], v[124:125]
	v_fma_f64 v[140:141], v[152:153], s[18:19], v[140:141]
	v_add_f64 v[190:191], v[160:161], v[190:191]
	v_fma_f64 v[124:125], v[195:196], s[2:3], v[124:125]
	v_fma_f64 v[195:196], v[195:196], s[2:3], v[140:141]
	v_add_f64 v[140:141], v[126:127], v[178:179]
	v_add_f64 v[140:141], v[140:141], v[180:181]
	;; [unrolled: 1-line block ×5, first 2 shown]
	v_fma_f64 v[140:141], v[140:141], -0.5, v[126:127]
	v_fma_f64 v[156:157], v[188:189], s[16:17], v[140:141]
	v_fma_f64 v[140:141], v[188:189], s[14:15], v[140:141]
	;; [unrolled: 1-line block ×6, first 2 shown]
	v_add_f64 v[140:141], v[178:179], v[184:185]
	v_add_f64 v[178:179], v[180:181], -v[178:179]
	v_add_f64 v[180:181], v[182:183], -v[184:185]
	;; [unrolled: 1-line block ×4, first 2 shown]
	v_fma_f64 v[140:141], v[140:141], -0.5, v[126:127]
	v_add_f64 v[178:179], v[178:179], v[180:181]
	v_add_f64 v[180:181], v[162:163], -v[168:169]
	v_fma_f64 v[126:127], v[186:187], s[14:15], v[140:141]
	v_fma_f64 v[140:141], v[186:187], s[16:17], v[140:141]
	v_add_f64 v[186:187], v[170:171], -v[172:173]
	v_fma_f64 v[126:127], v[188:189], s[18:19], v[126:127]
	v_fma_f64 v[140:141], v[188:189], s[12:13], v[140:141]
	;; [unrolled: 3-line block ×3, first 2 shown]
	v_add_f64 v[140:141], v[120:121], v[170:171]
	v_add_f64 v[186:187], v[186:187], v[188:189]
	v_add_f64 v[188:189], v[172:173], -v[170:171]
	ds_write_b128 v2, v[150:153]
	ds_write_b128 v2, v[158:161] offset:176
	ds_write_b128 v2, v[124:127] offset:352
	ds_write_b128 v2, v[195:198] offset:528
	buffer_store_dword v2, off, s[44:47], 0 offset:192 ; 4-byte Folded Spill
	ds_write_b128 v2, v[154:157] offset:704
	v_mul_u32_u24_e32 v2, 55, v193
	v_add_f64 v[140:141], v[140:141], v[172:173]
	v_add_lshl_u32 v2, v2, v194, 4
	v_add_f64 v[188:189], v[188:189], v[190:191]
	v_add_f64 v[140:141], v[140:141], v[174:175]
	;; [unrolled: 1-line block ×4, first 2 shown]
	v_add_f64 v[172:173], v[172:173], -v[174:175]
	v_fma_f64 v[140:141], v[140:141], -0.5, v[120:121]
	v_fma_f64 v[182:183], v[180:181], s[14:15], v[140:141]
	v_fma_f64 v[140:141], v[180:181], s[16:17], v[140:141]
	;; [unrolled: 1-line block ×6, first 2 shown]
	v_add_f64 v[140:141], v[170:171], v[176:177]
	v_add_f64 v[170:171], v[170:171], -v[176:177]
	v_fma_f64 v[140:141], v[140:141], -0.5, v[120:121]
	v_fma_f64 v[120:121], v[184:185], s[16:17], v[140:141]
	v_fma_f64 v[140:141], v[184:185], s[14:15], v[140:141]
	v_add_f64 v[184:185], v[168:169], -v[166:167]
	v_fma_f64 v[120:121], v[180:181], s[12:13], v[120:121]
	v_fma_f64 v[140:141], v[180:181], s[18:19], v[140:141]
	;; [unrolled: 1-line block ×4, first 2 shown]
	v_add_f64 v[140:141], v[122:123], v[162:163]
	v_add_f64 v[140:141], v[140:141], v[164:165]
	;; [unrolled: 1-line block ×5, first 2 shown]
	v_fma_f64 v[140:141], v[140:141], -0.5, v[122:123]
	v_fma_f64 v[176:177], v[170:171], s[16:17], v[140:141]
	v_fma_f64 v[140:141], v[170:171], s[14:15], v[140:141]
	;; [unrolled: 1-line block ×3, first 2 shown]
	v_add_f64 v[176:177], v[162:163], -v[164:165]
	v_fma_f64 v[140:141], v[172:173], s[12:13], v[140:141]
	v_add_f64 v[176:177], v[176:177], v[184:185]
	v_fma_f64 v[188:189], v[176:177], s[2:3], v[140:141]
	v_add_f64 v[140:141], v[162:163], v[168:169]
	v_add_f64 v[162:163], v[164:165], -v[162:163]
	v_add_f64 v[164:165], v[166:167], -v[168:169]
	v_fma_f64 v[184:185], v[176:177], s[2:3], v[174:175]
	v_fma_f64 v[140:141], v[140:141], -0.5, v[122:123]
	v_add_f64 v[162:163], v[162:163], v[164:165]
	v_fma_f64 v[122:123], v[172:173], s[14:15], v[140:141]
	v_fma_f64 v[140:141], v[172:173], s[16:17], v[140:141]
	;; [unrolled: 1-line block ×6, first 2 shown]
	ds_write_b128 v2, v[178:181]
	ds_write_b128 v2, v[182:185] offset:176
	ds_write_b128 v2, v[120:123] offset:352
	;; [unrolled: 1-line block ×4, first 2 shown]
	s_waitcnt lgkmcnt(0)
	; wave barrier
	s_waitcnt lgkmcnt(0)
	ds_read_b128 v[170:173], v4
	ds_read_b128 v[136:139], v4 offset:2640
	ds_read_b128 v[140:143], v4 offset:5280
	;; [unrolled: 1-line block ×14, first 2 shown]
	buffer_store_dword v9, off, s[44:47], 0 offset:8 ; 4-byte Folded Spill
	global_load_dwordx4 v[120:123], v3, s[4:5] offset:752
	global_load_dwordx4 v[124:127], v3, s[4:5] offset:736
	global_load_dwordx4 v[128:131], v3, s[4:5] offset:720
	global_load_dwordx4 v[132:135], v3, s[4:5] offset:704
	v_mul_lo_u16_sdwa v3, v224, s0 dst_sel:DWORD dst_unused:UNUSED_PAD src0_sel:BYTE_0 src1_sel:DWORD
	v_lshrrev_b16_e32 v3, 13, v3
	v_mul_lo_u16_e32 v3, 55, v3
	v_sub_u16_e32 v3, v224, v3
	v_lshlrev_b32_sdwa v7, v7, v3 dst_sel:DWORD dst_unused:UNUSED_PAD src0_sel:DWORD src1_sel:BYTE_0
	s_waitcnt vmcnt(0) lgkmcnt(13)
	v_mul_f64 v[168:169], v[138:139], v[134:135]
	v_fma_f64 v[186:187], v[136:137], v[132:133], -v[168:169]
	v_mul_f64 v[136:137], v[136:137], v[134:135]
	v_fma_f64 v[176:177], v[138:139], v[132:133], v[136:137]
	s_waitcnt lgkmcnt(12)
	v_mul_f64 v[136:137], v[142:143], v[130:131]
	v_fma_f64 v[190:191], v[140:141], v[128:129], -v[136:137]
	v_mul_f64 v[136:137], v[140:141], v[130:131]
	v_add_f64 v[168:169], v[186:187], -v[190:191]
	v_fma_f64 v[180:181], v[142:143], v[128:129], v[136:137]
	s_waitcnt lgkmcnt(11)
	v_mul_f64 v[136:137], v[146:147], v[126:127]
	v_fma_f64 v[241:242], v[144:145], v[124:125], -v[136:137]
	v_mul_f64 v[136:137], v[144:145], v[126:127]
	v_fma_f64 v[182:183], v[146:147], v[124:125], v[136:137]
	s_waitcnt lgkmcnt(10)
	v_mul_f64 v[136:137], v[150:151], v[122:123]
	v_add_f64 v[174:175], v[180:181], -v[182:183]
	v_fma_f64 v[243:244], v[148:149], v[120:121], -v[136:137]
	v_mul_f64 v[136:137], v[148:149], v[122:123]
	v_add_f64 v[178:179], v[243:244], -v[241:242]
	v_fma_f64 v[184:185], v[150:151], v[120:121], v[136:137]
	s_waitcnt lgkmcnt(8)
	v_mul_f64 v[136:137], v[162:163], v[134:135]
	v_add_f64 v[178:179], v[168:169], v[178:179]
	v_fma_f64 v[188:189], v[160:161], v[132:133], -v[136:137]
	v_mul_f64 v[136:137], v[160:161], v[134:135]
	v_fma_f64 v[196:197], v[162:163], v[132:133], v[136:137]
	s_waitcnt lgkmcnt(7)
	v_mul_f64 v[136:137], v[166:167], v[130:131]
	v_add_f64 v[162:163], v[190:191], v[241:242]
	v_fma_f64 v[192:193], v[164:165], v[128:129], -v[136:137]
	v_mul_f64 v[136:137], v[164:165], v[130:131]
	v_fma_f64 v[162:163], v[162:163], -0.5, v[170:171]
	v_fma_f64 v[200:201], v[166:167], v[128:129], v[136:137]
	s_waitcnt lgkmcnt(6)
	v_mul_f64 v[136:137], v[204:205], v[126:127]
	v_add_f64 v[166:167], v[176:177], -v[184:185]
	v_fma_f64 v[210:211], v[202:203], v[124:125], -v[136:137]
	v_mul_f64 v[136:137], v[202:203], v[126:127]
	v_fma_f64 v[164:165], v[166:167], s[14:15], v[162:163]
	v_fma_f64 v[162:163], v[166:167], s[16:17], v[162:163]
	;; [unrolled: 1-line block ×3, first 2 shown]
	s_waitcnt lgkmcnt(5)
	v_mul_f64 v[136:137], v[208:209], v[122:123]
	v_fma_f64 v[164:165], v[174:175], s[12:13], v[164:165]
	v_fma_f64 v[162:163], v[174:175], s[18:19], v[162:163]
	v_fma_f64 v[212:213], v[206:207], v[120:121], -v[136:137]
	v_mul_f64 v[136:137], v[206:207], v[122:123]
	v_fma_f64 v[168:169], v[178:179], s[2:3], v[164:165]
	v_fma_f64 v[164:165], v[178:179], s[2:3], v[162:163]
	v_add_f64 v[162:163], v[186:187], v[243:244]
	v_add_f64 v[178:179], v[190:191], -v[186:187]
	v_fma_f64 v[208:209], v[208:209], v[120:121], v[136:137]
	global_load_dwordx4 v[136:139], v7, s[4:5] offset:752
	global_load_dwordx4 v[140:143], v7, s[4:5] offset:736
	global_load_dwordx4 v[144:147], v7, s[4:5] offset:720
	global_load_dwordx4 v[148:151], v7, s[4:5] offset:704
	v_mov_b32_e32 v7, 4
	v_fma_f64 v[162:163], v[162:163], -0.5, v[170:171]
	v_lshlrev_b32_sdwa v3, v7, v3 dst_sel:DWORD dst_unused:UNUSED_PAD src0_sel:DWORD src1_sel:BYTE_0
	v_sub_co_u32_e64 v7, s[0:1], v226, v223
	v_subbrev_co_u32_e64 v8, s[0:1], 0, v227, s[0:1]
	s_waitcnt lgkmcnt(0)
	; wave barrier
	s_waitcnt lgkmcnt(0)
	s_movk_i32 s5, 0x1000
	s_waitcnt vmcnt(0)
	v_mul_f64 v[160:161], v[218:219], v[150:151]
	v_fma_f64 v[214:215], v[216:217], v[148:149], -v[160:161]
	v_mul_f64 v[160:161], v[216:217], v[150:151]
	v_fma_f64 v[194:195], v[218:219], v[148:149], v[160:161]
	v_mul_f64 v[160:161], v[230:231], v[146:147]
	v_fma_f64 v[216:217], v[228:229], v[144:145], -v[160:161]
	v_mul_f64 v[160:161], v[228:229], v[146:147]
	v_add_f64 v[228:229], v[241:242], -v[243:244]
	v_fma_f64 v[198:199], v[230:231], v[144:145], v[160:161]
	v_mul_f64 v[160:161], v[234:235], v[142:143]
	v_add_f64 v[228:229], v[178:179], v[228:229]
	v_add_f64 v[230:231], v[184:185], -v[182:183]
	v_fma_f64 v[218:219], v[232:233], v[140:141], -v[160:161]
	v_mul_f64 v[160:161], v[232:233], v[142:143]
	v_add_f64 v[232:233], v[210:211], -v[212:213]
	v_fma_f64 v[202:203], v[234:235], v[140:141], v[160:161]
	v_mul_f64 v[160:161], v[238:239], v[138:139]
	v_fma_f64 v[220:221], v[236:237], v[136:137], -v[160:161]
	v_mul_f64 v[160:161], v[236:237], v[138:139]
	v_fma_f64 v[206:207], v[238:239], v[136:137], v[160:161]
	v_add_f64 v[160:161], v[170:171], v[186:187]
	v_fma_f64 v[170:171], v[174:175], s[16:17], v[162:163]
	v_fma_f64 v[162:163], v[174:175], s[14:15], v[162:163]
	v_add_f64 v[186:187], v[186:187], -v[243:244]
	v_add_f64 v[160:161], v[160:161], v[190:191]
	v_fma_f64 v[170:171], v[166:167], s[12:13], v[170:171]
	v_fma_f64 v[162:163], v[166:167], s[18:19], v[162:163]
	v_add_f64 v[166:167], v[180:181], v[182:183]
	v_add_f64 v[190:191], v[190:191], -v[241:242]
	v_add_f64 v[160:161], v[160:161], v[241:242]
	v_fma_f64 v[178:179], v[228:229], s[2:3], v[170:171]
	v_fma_f64 v[174:175], v[228:229], s[2:3], v[162:163]
	v_fma_f64 v[166:167], v[166:167], -0.5, v[172:173]
	v_add_f64 v[228:229], v[176:177], -v[180:181]
	v_add_f64 v[162:163], v[172:173], v[176:177]
	v_add_f64 v[160:161], v[160:161], v[243:244]
	v_fma_f64 v[170:171], v[186:187], s[16:17], v[166:167]
	v_fma_f64 v[166:167], v[186:187], s[14:15], v[166:167]
	v_add_f64 v[228:229], v[228:229], v[230:231]
	v_add_f64 v[162:163], v[162:163], v[180:181]
	v_add_f64 v[230:231], v[212:213], -v[210:211]
	v_fma_f64 v[170:171], v[190:191], s[18:19], v[170:171]
	v_fma_f64 v[166:167], v[190:191], s[12:13], v[166:167]
	v_add_f64 v[162:163], v[162:163], v[182:183]
	v_fma_f64 v[170:171], v[228:229], s[2:3], v[170:171]
	v_fma_f64 v[166:167], v[228:229], s[2:3], v[166:167]
	v_add_f64 v[228:229], v[176:177], v[184:185]
	v_add_f64 v[176:177], v[180:181], -v[176:177]
	v_add_f64 v[180:181], v[182:183], -v[184:185]
	v_add_f64 v[162:163], v[162:163], v[184:185]
	v_add_f64 v[184:185], v[196:197], -v[208:209]
	v_fma_f64 v[172:173], v[228:229], -0.5, v[172:173]
	v_add_f64 v[176:177], v[176:177], v[180:181]
	v_fma_f64 v[228:229], v[190:191], s[14:15], v[172:173]
	v_fma_f64 v[172:173], v[190:191], s[16:17], v[172:173]
	v_add_f64 v[190:191], v[188:189], -v[192:193]
	v_fma_f64 v[228:229], v[186:187], s[18:19], v[228:229]
	v_fma_f64 v[172:173], v[186:187], s[12:13], v[172:173]
	v_add_f64 v[230:231], v[190:191], v[230:231]
	v_fma_f64 v[180:181], v[176:177], s[2:3], v[228:229]
	v_fma_f64 v[176:177], v[176:177], s[2:3], v[172:173]
	v_add_f64 v[172:173], v[156:157], v[188:189]
	v_add_f64 v[228:229], v[200:201], -v[204:205]
	v_add_f64 v[172:173], v[172:173], v[192:193]
	v_add_f64 v[172:173], v[172:173], v[210:211]
	;; [unrolled: 1-line block ×4, first 2 shown]
	v_add_f64 v[210:211], v[192:193], -v[210:211]
	v_fma_f64 v[172:173], v[172:173], -0.5, v[156:157]
	v_fma_f64 v[186:187], v[184:185], s[14:15], v[172:173]
	v_fma_f64 v[172:173], v[184:185], s[16:17], v[172:173]
	;; [unrolled: 1-line block ×6, first 2 shown]
	v_add_f64 v[172:173], v[188:189], v[212:213]
	v_add_f64 v[230:231], v[192:193], -v[188:189]
	v_add_f64 v[212:213], v[188:189], -v[212:213]
	;; [unrolled: 1-line block ×3, first 2 shown]
	v_fma_f64 v[172:173], v[172:173], -0.5, v[156:157]
	v_add_f64 v[230:231], v[230:231], v[232:233]
	v_fma_f64 v[156:157], v[228:229], s[16:17], v[172:173]
	v_fma_f64 v[172:173], v[228:229], s[14:15], v[172:173]
	;; [unrolled: 1-line block ×6, first 2 shown]
	v_add_f64 v[172:173], v[158:159], v[196:197]
	v_add_f64 v[230:231], v[208:209], -v[204:205]
	v_add_f64 v[172:173], v[172:173], v[200:201]
	v_add_f64 v[230:231], v[192:193], v[230:231]
	v_add_f64 v[172:173], v[172:173], v[204:205]
	v_add_f64 v[184:185], v[172:173], v[208:209]
	v_add_f64 v[172:173], v[200:201], v[204:205]
	v_fma_f64 v[172:173], v[172:173], -0.5, v[158:159]
	v_fma_f64 v[188:189], v[212:213], s[16:17], v[172:173]
	v_fma_f64 v[172:173], v[212:213], s[14:15], v[172:173]
	;; [unrolled: 1-line block ×6, first 2 shown]
	v_add_f64 v[172:173], v[196:197], v[208:209]
	v_add_f64 v[196:197], v[200:201], -v[196:197]
	v_add_f64 v[200:201], v[204:205], -v[208:209]
	;; [unrolled: 1-line block ×3, first 2 shown]
	v_fma_f64 v[172:173], v[172:173], -0.5, v[158:159]
	v_add_f64 v[196:197], v[196:197], v[200:201]
	v_fma_f64 v[158:159], v[210:211], s[14:15], v[172:173]
	v_fma_f64 v[172:173], v[210:211], s[16:17], v[172:173]
	v_add_f64 v[210:211], v[214:215], -v[216:217]
	v_fma_f64 v[158:159], v[212:213], s[18:19], v[158:159]
	v_fma_f64 v[172:173], v[212:213], s[12:13], v[172:173]
	v_add_f64 v[212:213], v[220:221], -v[218:219]
	v_fma_f64 v[158:159], v[196:197], s[2:3], v[158:159]
	v_fma_f64 v[230:231], v[196:197], s[2:3], v[172:173]
	v_add_f64 v[172:173], v[152:153], v[214:215]
	v_add_f64 v[196:197], v[194:195], -v[206:207]
	v_add_f64 v[210:211], v[210:211], v[212:213]
	ds_write_b128 v4, v[160:163]
	ds_write_b128 v4, v[168:171] offset:880
	ds_write_b128 v4, v[178:181] offset:1760
	;; [unrolled: 1-line block ×9, first 2 shown]
	v_add_f64 v[172:173], v[172:173], v[216:217]
	v_add_f64 v[172:173], v[172:173], v[218:219]
	;; [unrolled: 1-line block ×4, first 2 shown]
	v_fma_f64 v[172:173], v[172:173], -0.5, v[152:153]
	v_fma_f64 v[200:201], v[196:197], s[14:15], v[172:173]
	v_fma_f64 v[172:173], v[196:197], s[16:17], v[172:173]
	;; [unrolled: 1-line block ×6, first 2 shown]
	v_add_f64 v[172:173], v[214:215], v[220:221]
	v_add_f64 v[200:201], v[216:217], -v[214:215]
	v_add_f64 v[210:211], v[218:219], -v[220:221]
	;; [unrolled: 1-line block ×4, first 2 shown]
	v_fma_f64 v[172:173], v[172:173], -0.5, v[152:153]
	v_add_f64 v[200:201], v[200:201], v[210:211]
	v_fma_f64 v[152:153], v[204:205], s[16:17], v[172:173]
	v_fma_f64 v[172:173], v[204:205], s[14:15], v[172:173]
	;; [unrolled: 1-line block ×6, first 2 shown]
	v_add_f64 v[172:173], v[154:155], v[194:195]
	v_add_f64 v[200:201], v[214:215], -v[220:221]
	v_add_f64 v[214:215], v[194:195], -v[198:199]
	v_add_f64 v[172:173], v[172:173], v[198:199]
	v_add_f64 v[218:219], v[214:215], v[218:219]
	;; [unrolled: 1-line block ×5, first 2 shown]
	v_fma_f64 v[172:173], v[172:173], -0.5, v[154:155]
	v_fma_f64 v[204:205], v[200:201], s[16:17], v[172:173]
	v_fma_f64 v[172:173], v[200:201], s[14:15], v[172:173]
	;; [unrolled: 1-line block ×6, first 2 shown]
	v_add_f64 v[172:173], v[194:195], v[206:207]
	v_add_f64 v[194:195], v[198:199], -v[194:195]
	v_add_f64 v[198:199], v[202:203], -v[206:207]
	v_fma_f64 v[172:173], v[172:173], -0.5, v[154:155]
	v_add_f64 v[194:195], v[194:195], v[198:199]
	v_fma_f64 v[154:155], v[216:217], s[14:15], v[172:173]
	v_fma_f64 v[172:173], v[216:217], s[16:17], v[172:173]
	;; [unrolled: 1-line block ×6, first 2 shown]
	s_movk_i32 s2, 0x1080
	v_add_co_u32_e64 v156, s[0:1], s2, v7
	v_addc_co_u32_e64 v157, s[0:1], 0, v8, s[0:1]
	ds_write_b128 v3, v[208:211] offset:8800
	ds_write_b128 v3, v[212:215] offset:9680
	;; [unrolled: 1-line block ×5, first 2 shown]
	v_add_co_u32_e64 v152, s[0:1], s5, v7
	v_addc_co_u32_e64 v153, s[0:1], 0, v8, s[0:1]
	s_waitcnt lgkmcnt(0)
	; wave barrier
	s_waitcnt lgkmcnt(0)
	ds_read_b128 v[208:211], v4
	ds_read_b128 v[160:163], v4 offset:4400
	ds_read_b128 v[164:167], v4 offset:8800
	;; [unrolled: 1-line block ×14, first 2 shown]
	global_load_dwordx4 v[152:155], v[152:153], off offset:128
	s_nop 0
	global_load_dwordx4 v[156:159], v[156:157], off offset:16
	v_lshlrev_b32_e32 v7, 5, v240
	v_add_co_u32_e64 v7, s[0:1], s4, v7
	v_addc_co_u32_e64 v8, s[0:1], 0, v225, s[0:1]
	s_mov_b32 s3, 0xbfebb67a
	s_waitcnt vmcnt(1) lgkmcnt(13)
	v_mul_f64 v[220:221], v[162:163], v[154:155]
	v_fma_f64 v[220:221], v[160:161], v[152:153], -v[220:221]
	v_mul_f64 v[160:161], v[160:161], v[154:155]
	v_add_f64 v[22:23], v[208:209], v[220:221]
	v_fma_f64 v[226:227], v[162:163], v[152:153], v[160:161]
	s_waitcnt vmcnt(0) lgkmcnt(12)
	v_mul_f64 v[160:161], v[166:167], v[158:159]
	v_fma_f64 v[228:229], v[164:165], v[156:157], -v[160:161]
	v_mul_f64 v[160:161], v[164:165], v[158:159]
	v_fma_f64 v[230:231], v[166:167], v[156:157], v[160:161]
	v_add_co_u32_e64 v160, s[0:1], s2, v7
	v_addc_co_u32_e64 v161, s[0:1], 0, v8, s[0:1]
	v_add_co_u32_e64 v162, s[0:1], s5, v7
	v_addc_co_u32_e64 v163, s[0:1], 0, v8, s[0:1]
	global_load_dwordx4 v[164:167], v[162:163], off offset:128
	s_nop 0
	global_load_dwordx4 v[160:163], v[160:161], off offset:16
	v_lshlrev_b32_e32 v7, 5, v224
	v_add_co_u32_e64 v7, s[0:1], s4, v7
	v_addc_co_u32_e64 v8, s[0:1], 0, v225, s[0:1]
	s_waitcnt vmcnt(1) lgkmcnt(10)
	v_mul_f64 v[232:233], v[170:171], v[166:167]
	v_fma_f64 v[233:234], v[168:169], v[164:165], -v[232:233]
	v_mul_f64 v[168:169], v[168:169], v[166:167]
	v_fma_f64 v[235:236], v[170:171], v[164:165], v[168:169]
	s_waitcnt vmcnt(0) lgkmcnt(9)
	v_mul_f64 v[168:169], v[174:175], v[162:163]
	v_fma_f64 v[237:238], v[172:173], v[160:161], -v[168:169]
	v_mul_f64 v[168:169], v[172:173], v[162:163]
	v_add_co_u32_e64 v172, s[0:1], s2, v7
	v_addc_co_u32_e64 v173, s[0:1], 0, v8, s[0:1]
	v_fma_f64 v[239:240], v[174:175], v[160:161], v[168:169]
	v_add_co_u32_e64 v168, s[0:1], s5, v7
	v_addc_co_u32_e64 v169, s[0:1], 0, v8, s[0:1]
	global_load_dwordx4 v[168:171], v[168:169], off offset:128
	s_nop 0
	global_load_dwordx4 v[172:175], v[172:173], off offset:16
	v_add_u32_e32 v7, 0x14a0, v223
	v_add_co_u32_e64 v7, s[0:1], s4, v7
	v_addc_co_u32_e64 v8, s[0:1], 0, v225, s[0:1]
	s_waitcnt vmcnt(1) lgkmcnt(7)
	v_mul_f64 v[241:242], v[178:179], v[170:171]
	v_fma_f64 v[241:242], v[176:177], v[168:169], -v[241:242]
	v_mul_f64 v[176:177], v[176:177], v[170:171]
	v_fma_f64 v[245:246], v[178:179], v[168:169], v[176:177]
	s_waitcnt vmcnt(0) lgkmcnt(6)
	v_mul_f64 v[176:177], v[182:183], v[174:175]
	v_fma_f64 v[247:248], v[180:181], v[172:173], -v[176:177]
	v_mul_f64 v[176:177], v[180:181], v[174:175]
	v_fma_f64 v[249:250], v[182:183], v[172:173], v[176:177]
	v_add_co_u32_e64 v176, s[0:1], s2, v7
	v_addc_co_u32_e64 v177, s[0:1], 0, v8, s[0:1]
	v_add_co_u32_e64 v178, s[0:1], s5, v7
	v_addc_co_u32_e64 v179, s[0:1], 0, v8, s[0:1]
	global_load_dwordx4 v[180:183], v[178:179], off offset:128
	s_nop 0
	global_load_dwordx4 v[176:179], v[176:177], off offset:16
	v_add_u32_e32 v7, 0x1b80, v223
	v_add_co_u32_e64 v7, s[0:1], s4, v7
	v_addc_co_u32_e64 v16, s[0:1], 0, v225, s[0:1]
	v_add_co_u32_e64 v14, s[0:1], s2, v7
	v_addc_co_u32_e64 v15, s[0:1], 0, v16, s[0:1]
	s_movk_i32 s4, 0x3000
	s_waitcnt vmcnt(1) lgkmcnt(4)
	v_mul_f64 v[243:244], v[186:187], v[182:183]
	s_waitcnt vmcnt(0) lgkmcnt(3)
	v_mul_f64 v[10:11], v[190:191], v[178:179]
	v_fma_f64 v[253:254], v[184:185], v[180:181], -v[243:244]
	v_mul_f64 v[184:185], v[184:185], v[182:183]
	v_fma_f64 v[10:11], v[188:189], v[176:177], -v[10:11]
	v_fma_f64 v[8:9], v[186:187], v[180:181], v[184:185]
	v_mul_f64 v[184:185], v[188:189], v[178:179]
	v_fma_f64 v[12:13], v[190:191], v[176:177], v[184:185]
	v_add_co_u32_e64 v184, s[0:1], s5, v7
	v_addc_co_u32_e64 v185, s[0:1], 0, v16, s[0:1]
	global_load_dwordx4 v[184:187], v[184:185], off offset:128
	s_nop 0
	global_load_dwordx4 v[188:191], v[14:15], off offset:16
	s_mov_b32 s0, 0xe8584caa
	s_mov_b32 s1, 0x3febb67a
	;; [unrolled: 1-line block ×3, first 2 shown]
	s_waitcnt vmcnt(1) lgkmcnt(1)
	v_mul_f64 v[14:15], v[214:215], v[186:187]
	s_waitcnt vmcnt(0) lgkmcnt(0)
	v_mul_f64 v[18:19], v[218:219], v[190:191]
	v_fma_f64 v[14:15], v[212:213], v[184:185], -v[14:15]
	v_mul_f64 v[212:213], v[212:213], v[186:187]
	v_fma_f64 v[18:19], v[216:217], v[188:189], -v[18:19]
	v_fma_f64 v[16:17], v[214:215], v[184:185], v[212:213]
	v_mul_f64 v[212:213], v[216:217], v[190:191]
	v_add_f64 v[214:215], v[226:227], -v[230:231]
	v_fma_f64 v[20:21], v[218:219], v[188:189], v[212:213]
	v_add_f64 v[212:213], v[22:23], v[228:229]
	v_add_f64 v[22:23], v[220:221], v[228:229]
	v_add_f64 v[218:219], v[220:221], -v[228:229]
	v_fma_f64 v[22:23], v[22:23], -0.5, v[208:209]
	v_fma_f64 v[208:209], v[214:215], s[0:1], v[22:23]
	v_fma_f64 v[216:217], v[214:215], s[2:3], v[22:23]
	v_add_f64 v[22:23], v[210:211], v[226:227]
	v_add_f64 v[214:215], v[22:23], v[230:231]
	;; [unrolled: 1-line block ×3, first 2 shown]
	v_fma_f64 v[22:23], v[22:23], -0.5, v[210:211]
	v_fma_f64 v[210:211], v[218:219], s[2:3], v[22:23]
	v_fma_f64 v[218:219], v[218:219], s[0:1], v[22:23]
	v_add_f64 v[22:23], v[204:205], v[233:234]
	v_add_f64 v[223:224], v[22:23], v[237:238]
	v_add_f64 v[22:23], v[233:234], v[237:238]
	v_fma_f64 v[22:23], v[22:23], -0.5, v[204:205]
	v_add_f64 v[204:205], v[235:236], -v[239:240]
	v_fma_f64 v[227:228], v[204:205], s[0:1], v[22:23]
	v_fma_f64 v[231:232], v[204:205], s[2:3], v[22:23]
	v_add_f64 v[22:23], v[206:207], v[235:236]
	v_add_f64 v[204:205], v[233:234], -v[237:238]
	v_add_f64 v[225:226], v[22:23], v[239:240]
	v_add_f64 v[22:23], v[235:236], v[239:240]
	v_fma_f64 v[22:23], v[22:23], -0.5, v[206:207]
	v_fma_f64 v[229:230], v[204:205], s[2:3], v[22:23]
	v_fma_f64 v[233:234], v[204:205], s[0:1], v[22:23]
	v_add_f64 v[22:23], v[196:197], v[241:242]
	v_add_f64 v[235:236], v[22:23], v[247:248]
	;; [unrolled: 1-line block ×3, first 2 shown]
	v_fma_f64 v[22:23], v[22:23], -0.5, v[196:197]
	v_add_f64 v[196:197], v[245:246], -v[249:250]
	v_fma_f64 v[239:240], v[196:197], s[0:1], v[22:23]
	v_fma_f64 v[243:244], v[196:197], s[2:3], v[22:23]
	v_add_f64 v[22:23], v[198:199], v[245:246]
	v_add_f64 v[196:197], v[241:242], -v[247:248]
	v_add_f64 v[237:238], v[22:23], v[249:250]
	v_add_f64 v[22:23], v[245:246], v[249:250]
	v_fma_f64 v[22:23], v[22:23], -0.5, v[198:199]
	v_fma_f64 v[241:242], v[196:197], s[2:3], v[22:23]
	v_fma_f64 v[245:246], v[196:197], s[0:1], v[22:23]
	v_add_f64 v[22:23], v[192:193], v[253:254]
	v_add_f64 v[247:248], v[22:23], v[10:11]
	;; [unrolled: 1-line block ×3, first 2 shown]
	v_add_f64 v[10:11], v[253:254], -v[10:11]
	v_fma_f64 v[22:23], v[22:23], -0.5, v[192:193]
	v_add_f64 v[192:193], v[8:9], -v[12:13]
	v_fma_f64 v[251:252], v[192:193], s[0:1], v[22:23]
	v_fma_f64 v[192:193], v[192:193], s[2:3], v[22:23]
	v_add_f64 v[22:23], v[194:195], v[8:9]
	v_add_f64 v[8:9], v[8:9], v[12:13]
	;; [unrolled: 1-line block ×3, first 2 shown]
	v_fma_f64 v[8:9], v[8:9], -0.5, v[194:195]
	v_fma_f64 v[253:254], v[10:11], s[2:3], v[8:9]
	v_fma_f64 v[194:195], v[10:11], s[0:1], v[8:9]
	v_add_f64 v[8:9], v[200:201], v[14:15]
	v_add_f64 v[10:11], v[16:17], -v[20:21]
	v_add_f64 v[196:197], v[8:9], v[18:19]
	v_add_f64 v[8:9], v[14:15], v[18:19]
	v_fma_f64 v[8:9], v[8:9], -0.5, v[200:201]
	v_fma_f64 v[200:201], v[10:11], s[0:1], v[8:9]
	v_fma_f64 v[204:205], v[10:11], s[2:3], v[8:9]
	v_add_f64 v[8:9], v[202:203], v[16:17]
	v_add_f64 v[10:11], v[14:15], -v[18:19]
	v_add_f64 v[198:199], v[8:9], v[20:21]
	v_add_f64 v[8:9], v[16:17], v[20:21]
	v_fma_f64 v[8:9], v[8:9], -0.5, v[202:203]
	v_fma_f64 v[206:207], v[10:11], s[0:1], v[8:9]
	s_movk_i32 s0, 0x3390
	v_fma_f64 v[202:203], v[10:11], s[2:3], v[8:9]
	ds_write_b128 v4, v[212:215]
	ds_write_b128 v4, v[208:211] offset:4400
	ds_write_b128 v4, v[216:219] offset:8800
	;; [unrolled: 1-line block ×14, first 2 shown]
	v_add_co_u32_e64 v208, s[0:1], s0, v0
	v_addc_co_u32_e64 v209, s[0:1], 0, v222, s[0:1]
	v_add_co_u32_e64 v8, s[0:1], s4, v0
	v_addc_co_u32_e64 v9, s[0:1], 0, v222, s[0:1]
	s_waitcnt lgkmcnt(0)
	; wave barrier
	s_waitcnt lgkmcnt(0)
	global_load_dwordx4 v[214:217], v[8:9], off offset:912
	ds_read_b128 v[210:213], v4
	s_movk_i32 s0, 0x4000
	s_waitcnt vmcnt(0) lgkmcnt(0)
	v_mul_f64 v[8:9], v[212:213], v[216:217]
	v_fma_f64 v[218:219], v[210:211], v[214:215], -v[8:9]
	v_mul_f64 v[8:9], v[210:211], v[216:217]
	v_fma_f64 v[220:221], v[212:213], v[214:215], v[8:9]
	global_load_dwordx4 v[214:217], v[208:209], off offset:1200
	ds_read_b128 v[210:213], v4 offset:1200
	ds_write_b128 v4, v[218:221]
	s_waitcnt vmcnt(0) lgkmcnt(1)
	v_mul_f64 v[8:9], v[212:213], v[216:217]
	v_fma_f64 v[218:219], v[210:211], v[214:215], -v[8:9]
	v_mul_f64 v[8:9], v[210:211], v[216:217]
	v_fma_f64 v[220:221], v[212:213], v[214:215], v[8:9]
	global_load_dwordx4 v[214:217], v[208:209], off offset:2400
	ds_read_b128 v[210:213], v4 offset:2400
	ds_write_b128 v4, v[218:221] offset:1200
	s_waitcnt vmcnt(0) lgkmcnt(1)
	v_mul_f64 v[8:9], v[212:213], v[216:217]
	v_fma_f64 v[218:219], v[210:211], v[214:215], -v[8:9]
	v_mul_f64 v[8:9], v[210:211], v[216:217]
	v_fma_f64 v[220:221], v[212:213], v[214:215], v[8:9]
	global_load_dwordx4 v[214:217], v[208:209], off offset:3600
	ds_read_b128 v[210:213], v4 offset:3600
	ds_write_b128 v4, v[218:221] offset:2400
	s_waitcnt vmcnt(0) lgkmcnt(1)
	v_mul_f64 v[8:9], v[212:213], v[216:217]
	v_fma_f64 v[218:219], v[210:211], v[214:215], -v[8:9]
	v_mul_f64 v[8:9], v[210:211], v[216:217]
	v_fma_f64 v[220:221], v[212:213], v[214:215], v[8:9]
	v_add_co_u32_e64 v8, s[0:1], s0, v0
	v_addc_co_u32_e64 v9, s[0:1], 0, v222, s[0:1]
	global_load_dwordx4 v[214:217], v[8:9], off offset:1616
	ds_read_b128 v[210:213], v4 offset:4800
	s_movk_i32 s0, 0x5000
	ds_write_b128 v4, v[218:221] offset:3600
	s_waitcnt vmcnt(0) lgkmcnt(1)
	v_mul_f64 v[10:11], v[212:213], v[216:217]
	v_fma_f64 v[218:219], v[210:211], v[214:215], -v[10:11]
	v_mul_f64 v[10:11], v[210:211], v[216:217]
	v_fma_f64 v[220:221], v[212:213], v[214:215], v[10:11]
	global_load_dwordx4 v[214:217], v[8:9], off offset:2816
	ds_read_b128 v[210:213], v4 offset:6000
	ds_write_b128 v4, v[218:221] offset:4800
	s_waitcnt vmcnt(0) lgkmcnt(1)
	v_mul_f64 v[10:11], v[212:213], v[216:217]
	v_fma_f64 v[218:219], v[210:211], v[214:215], -v[10:11]
	v_mul_f64 v[10:11], v[210:211], v[216:217]
	v_fma_f64 v[220:221], v[212:213], v[214:215], v[10:11]
	global_load_dwordx4 v[214:217], v[8:9], off offset:4016
	ds_read_b128 v[210:213], v4 offset:7200
	ds_write_b128 v4, v[218:221] offset:6000
	s_waitcnt vmcnt(0) lgkmcnt(1)
	v_mul_f64 v[8:9], v[212:213], v[216:217]
	v_fma_f64 v[218:219], v[210:211], v[214:215], -v[8:9]
	v_mul_f64 v[8:9], v[210:211], v[216:217]
	v_fma_f64 v[220:221], v[212:213], v[214:215], v[8:9]
	v_add_co_u32_e64 v8, s[0:1], s0, v0
	v_addc_co_u32_e64 v9, s[0:1], 0, v222, s[0:1]
	global_load_dwordx4 v[214:217], v[8:9], off offset:1120
	ds_read_b128 v[210:213], v4 offset:8400
	s_movk_i32 s0, 0x6000
	ds_write_b128 v4, v[218:221] offset:7200
	s_waitcnt vmcnt(0) lgkmcnt(1)
	v_mul_f64 v[10:11], v[212:213], v[216:217]
	v_fma_f64 v[218:219], v[210:211], v[214:215], -v[10:11]
	v_mul_f64 v[10:11], v[210:211], v[216:217]
	v_fma_f64 v[220:221], v[212:213], v[214:215], v[10:11]
	global_load_dwordx4 v[214:217], v[8:9], off offset:2320
	ds_read_b128 v[210:213], v4 offset:9600
	ds_write_b128 v4, v[218:221] offset:8400
	s_waitcnt vmcnt(0) lgkmcnt(1)
	v_mul_f64 v[10:11], v[212:213], v[216:217]
	v_fma_f64 v[218:219], v[210:211], v[214:215], -v[10:11]
	v_mul_f64 v[10:11], v[210:211], v[216:217]
	v_fma_f64 v[220:221], v[212:213], v[214:215], v[10:11]
	global_load_dwordx4 v[214:217], v[8:9], off offset:3520
	ds_read_b128 v[210:213], v4 offset:10800
	ds_write_b128 v4, v[218:221] offset:9600
	s_waitcnt vmcnt(0) lgkmcnt(1)
	v_mul_f64 v[8:9], v[212:213], v[216:217]
	v_fma_f64 v[218:219], v[210:211], v[214:215], -v[8:9]
	v_mul_f64 v[8:9], v[210:211], v[216:217]
	v_fma_f64 v[220:221], v[212:213], v[214:215], v[8:9]
	v_add_co_u32_e64 v8, s[0:1], s0, v0
	v_addc_co_u32_e64 v9, s[0:1], 0, v222, s[0:1]
	global_load_dwordx4 v[214:217], v[8:9], off offset:624
	ds_read_b128 v[210:213], v4 offset:12000
	ds_write_b128 v4, v[218:221] offset:10800
	s_waitcnt vmcnt(0) lgkmcnt(1)
	v_mul_f64 v[8:9], v[212:213], v[216:217]
	v_fma_f64 v[218:219], v[210:211], v[214:215], -v[8:9]
	v_mul_f64 v[8:9], v[210:211], v[216:217]
	v_fma_f64 v[220:221], v[212:213], v[214:215], v[8:9]
	ds_write_b128 v4, v[218:221] offset:12000
	s_and_saveexec_b64 s[2:3], vcc
	s_cbranch_execz .LBB0_9
; %bb.8:
	global_load_dwordx4 v[214:217], v[208:209], off offset:880
	ds_read_b128 v[210:213], v4 offset:880
	s_waitcnt vmcnt(0) lgkmcnt(0)
	v_mul_f64 v[8:9], v[212:213], v[216:217]
	v_fma_f64 v[218:219], v[210:211], v[214:215], -v[8:9]
	v_mul_f64 v[8:9], v[210:211], v[216:217]
	v_fma_f64 v[220:221], v[212:213], v[214:215], v[8:9]
	global_load_dwordx4 v[214:217], v[208:209], off offset:2080
	ds_read_b128 v[210:213], v4 offset:2080
	ds_write_b128 v4, v[218:221] offset:880
	s_waitcnt vmcnt(0) lgkmcnt(1)
	v_mul_f64 v[8:9], v[212:213], v[216:217]
	v_fma_f64 v[218:219], v[210:211], v[214:215], -v[8:9]
	v_mul_f64 v[8:9], v[210:211], v[216:217]
	v_fma_f64 v[220:221], v[212:213], v[214:215], v[8:9]
	global_load_dwordx4 v[214:217], v[208:209], off offset:3280
	ds_read_b128 v[210:213], v4 offset:3280
	ds_write_b128 v4, v[218:221] offset:2080
	s_waitcnt vmcnt(0) lgkmcnt(1)
	v_mul_f64 v[8:9], v[212:213], v[216:217]
	v_fma_f64 v[218:219], v[210:211], v[214:215], -v[8:9]
	v_mul_f64 v[8:9], v[210:211], v[216:217]
	v_fma_f64 v[220:221], v[212:213], v[214:215], v[8:9]
	v_add_co_u32_e64 v8, s[0:1], s5, v208
	v_addc_co_u32_e64 v9, s[0:1], 0, v209, s[0:1]
	global_load_dwordx4 v[214:217], v[8:9], off offset:384
	ds_read_b128 v[210:213], v4 offset:4480
	s_movk_i32 s0, 0x2000
	ds_write_b128 v4, v[218:221] offset:3280
	s_waitcnt vmcnt(0) lgkmcnt(1)
	v_mul_f64 v[10:11], v[212:213], v[216:217]
	v_fma_f64 v[218:219], v[210:211], v[214:215], -v[10:11]
	v_mul_f64 v[10:11], v[210:211], v[216:217]
	v_fma_f64 v[220:221], v[212:213], v[214:215], v[10:11]
	global_load_dwordx4 v[214:217], v[8:9], off offset:1584
	ds_read_b128 v[210:213], v4 offset:5680
	ds_write_b128 v4, v[218:221] offset:4480
	s_waitcnt vmcnt(0) lgkmcnt(1)
	v_mul_f64 v[10:11], v[212:213], v[216:217]
	v_fma_f64 v[218:219], v[210:211], v[214:215], -v[10:11]
	v_mul_f64 v[10:11], v[210:211], v[216:217]
	v_fma_f64 v[220:221], v[212:213], v[214:215], v[10:11]
	global_load_dwordx4 v[214:217], v[8:9], off offset:2784
	ds_read_b128 v[210:213], v4 offset:6880
	;; [unrolled: 8-line block ×3, first 2 shown]
	ds_write_b128 v4, v[218:221] offset:6880
	s_waitcnt vmcnt(0) lgkmcnt(1)
	v_mul_f64 v[8:9], v[212:213], v[216:217]
	v_fma_f64 v[218:219], v[210:211], v[214:215], -v[8:9]
	v_mul_f64 v[8:9], v[210:211], v[216:217]
	v_fma_f64 v[220:221], v[212:213], v[214:215], v[8:9]
	v_add_co_u32_e64 v8, s[0:1], s0, v208
	v_addc_co_u32_e64 v9, s[0:1], 0, v209, s[0:1]
	global_load_dwordx4 v[214:217], v[8:9], off offset:1088
	ds_read_b128 v[210:213], v4 offset:9280
	ds_write_b128 v4, v[218:221] offset:8080
	s_waitcnt vmcnt(0) lgkmcnt(1)
	v_mul_f64 v[10:11], v[212:213], v[216:217]
	v_fma_f64 v[218:219], v[210:211], v[214:215], -v[10:11]
	v_mul_f64 v[10:11], v[210:211], v[216:217]
	v_fma_f64 v[220:221], v[212:213], v[214:215], v[10:11]
	global_load_dwordx4 v[214:217], v[8:9], off offset:2288
	ds_read_b128 v[210:213], v4 offset:10480
	ds_write_b128 v4, v[218:221] offset:9280
	s_waitcnt vmcnt(0) lgkmcnt(1)
	v_mul_f64 v[10:11], v[212:213], v[216:217]
	v_fma_f64 v[218:219], v[210:211], v[214:215], -v[10:11]
	v_mul_f64 v[10:11], v[210:211], v[216:217]
	v_fma_f64 v[220:221], v[212:213], v[214:215], v[10:11]
	;; [unrolled: 8-line block ×3, first 2 shown]
	v_add_co_u32_e64 v8, s[0:1], s4, v208
	v_addc_co_u32_e64 v9, s[0:1], 0, v209, s[0:1]
	global_load_dwordx4 v[214:217], v[8:9], off offset:592
	ds_read_b128 v[210:213], v4 offset:12880
	ds_write_b128 v4, v[218:221] offset:11680
	s_waitcnt vmcnt(0) lgkmcnt(1)
	v_mul_f64 v[8:9], v[212:213], v[216:217]
	v_fma_f64 v[208:209], v[210:211], v[214:215], -v[8:9]
	v_mul_f64 v[8:9], v[210:211], v[216:217]
	v_fma_f64 v[210:211], v[212:213], v[214:215], v[8:9]
	ds_write_b128 v4, v[208:211] offset:12880
.LBB0_9:
	s_or_b64 exec, exec, s[2:3]
	s_waitcnt lgkmcnt(0)
	; wave barrier
	s_waitcnt lgkmcnt(0)
	ds_read_b128 v[244:247], v4
	ds_read_b128 v[248:251], v4 offset:1200
	ds_read_b128 v[236:239], v4 offset:2400
	;; [unrolled: 1-line block ×10, first 2 shown]
	s_and_saveexec_b64 s[0:1], vcc
	s_cbranch_execz .LBB0_11
; %bb.10:
	ds_read_b128 v[192:195], v4 offset:880
	ds_read_b128 v[196:199], v4 offset:2080
	;; [unrolled: 1-line block ×11, first 2 shown]
.LBB0_11:
	s_or_b64 exec, exec, s[0:1]
	s_waitcnt lgkmcnt(9)
	v_add_f64 v[8:9], v[244:245], v[248:249]
	v_add_f64 v[10:11], v[246:247], v[250:251]
	s_waitcnt lgkmcnt(0)
	v_add_f64 v[14:15], v[250:251], -v[254:255]
	s_mov_b32 s2, 0xf8bb580b
	s_mov_b32 s12, 0x8eee2c13
	;; [unrolled: 1-line block ×5, first 2 shown]
	v_add_f64 v[8:9], v[8:9], v[236:237]
	v_add_f64 v[10:11], v[10:11], v[238:239]
	s_mov_b32 s13, 0xbfed1bb4
	s_mov_b32 s17, 0xbfefac9e
	;; [unrolled: 1-line block ×3, first 2 shown]
	v_add_f64 v[12:13], v[248:249], -v[252:253]
	v_mul_f64 v[16:17], v[14:15], s[2:3]
	v_mul_f64 v[24:25], v[14:15], s[16:17]
	v_add_f64 v[8:9], v[8:9], v[228:229]
	v_add_f64 v[10:11], v[10:11], v[230:231]
	v_mul_f64 v[32:33], v[14:15], s[20:21]
	s_mov_b32 s0, 0x8764f0ba
	s_mov_b32 s4, 0xd9c712b6
	s_mov_b32 s14, 0x640f44db
	s_mov_b32 s18, 0x7f775887
	s_mov_b32 s24, 0x9bcd5057
	v_add_f64 v[8:9], v[8:9], v[220:221]
	v_add_f64 v[10:11], v[10:11], v[222:223]
	s_mov_b32 s1, 0x3feaeb8c
	s_mov_b32 s5, 0x3fda9628
	s_mov_b32 s15, 0xbfc2375f
	s_mov_b32 s19, 0xbfe4f49e
	s_mov_b32 s25, 0xbfeeb42a
	s_mov_b32 s23, 0x3fe14ced
	v_add_f64 v[8:9], v[8:9], v[208:209]
	v_add_f64 v[10:11], v[10:11], v[210:211]
	s_mov_b32 s22, s2
	s_mov_b32 s31, 0x3fed1bb4
	s_mov_b32 s30, s12
	s_mov_b32 s27, 0x3fefac9e
	s_mov_b32 s26, s16
	s_mov_b32 s37, 0x3fe82f19
	v_add_f64 v[8:9], v[8:9], v[212:213]
	v_add_f64 v[10:11], v[10:11], v[214:215]
	s_mov_b32 s36, s20
	s_mov_b32 s35, 0x3fd207e7
	s_mov_b32 s34, s28
	s_waitcnt lgkmcnt(0)
	; wave barrier
	v_add_f64 v[8:9], v[8:9], v[224:225]
	v_add_f64 v[10:11], v[10:11], v[226:227]
	;; [unrolled: 1-line block ×10, first 2 shown]
	v_mul_f64 v[248:249], v[14:15], s[12:13]
	v_mul_f64 v[14:15], v[14:15], s[28:29]
	v_fma_f64 v[18:19], v[8:9], s[0:1], v[16:17]
	v_mul_f64 v[20:21], v[10:11], s[0:1]
	v_fma_f64 v[16:17], v[8:9], s[0:1], -v[16:17]
	v_fma_f64 v[250:251], v[8:9], s[4:5], v[248:249]
	v_mul_f64 v[252:253], v[10:11], s[4:5]
	v_fma_f64 v[248:249], v[8:9], s[4:5], -v[248:249]
	;; [unrolled: 3-line block ×5, first 2 shown]
	v_add_f64 v[14:15], v[238:239], v[242:243]
	v_add_f64 v[238:239], v[238:239], -v[242:243]
	v_fma_f64 v[22:23], v[12:13], s[22:23], v[20:21]
	v_fma_f64 v[20:21], v[12:13], s[2:3], v[20:21]
	;; [unrolled: 1-line block ×10, first 2 shown]
	v_add_f64 v[12:13], v[236:237], v[240:241]
	v_add_f64 v[236:237], v[236:237], -v[240:241]
	v_mul_f64 v[240:241], v[238:239], s[12:13]
	v_add_f64 v[18:19], v[244:245], v[18:19]
	v_add_f64 v[16:17], v[244:245], v[16:17]
	;; [unrolled: 1-line block ×7, first 2 shown]
	v_fma_f64 v[242:243], v[12:13], s[4:5], v[240:241]
	v_fma_f64 v[240:241], v[12:13], s[4:5], -v[240:241]
	v_add_f64 v[34:35], v[244:245], v[34:35]
	v_add_f64 v[32:33], v[244:245], v[32:33]
	;; [unrolled: 1-line block ×7, first 2 shown]
	v_mul_f64 v[242:243], v[14:15], s[4:5]
	v_add_f64 v[16:17], v[240:241], v[16:17]
	v_add_f64 v[254:255], v[246:247], v[254:255]
	;; [unrolled: 1-line block ×7, first 2 shown]
	v_fma_f64 v[240:241], v[236:237], s[12:13], v[242:243]
	v_fma_f64 v[244:245], v[236:237], s[30:31], v[242:243]
	v_add_f64 v[10:11], v[246:247], v[10:11]
	v_add_f64 v[20:21], v[240:241], v[20:21]
	v_mul_f64 v[240:241], v[238:239], s[20:21]
	v_add_f64 v[22:23], v[244:245], v[22:23]
	v_mul_f64 v[244:245], v[14:15], s[18:19]
	v_fma_f64 v[242:243], v[12:13], s[18:19], v[240:241]
	v_fma_f64 v[240:241], v[12:13], s[18:19], -v[240:241]
	v_fma_f64 v[246:247], v[236:237], s[36:37], v[244:245]
	v_fma_f64 v[244:245], v[236:237], s[20:21], v[244:245]
	v_add_f64 v[242:243], v[242:243], v[250:251]
	v_add_f64 v[240:241], v[240:241], v[248:249]
	v_mul_f64 v[248:249], v[238:239], s[34:35]
	v_add_f64 v[244:245], v[244:245], v[252:253]
	v_add_f64 v[246:247], v[246:247], v[254:255]
	v_fma_f64 v[250:251], v[12:13], s[24:25], v[248:249]
	v_fma_f64 v[248:249], v[12:13], s[24:25], -v[248:249]
	v_add_f64 v[26:27], v[250:251], v[26:27]
	v_mul_f64 v[250:251], v[14:15], s[24:25]
	v_add_f64 v[24:25], v[248:249], v[24:25]
	v_fma_f64 v[248:249], v[236:237], s[34:35], v[250:251]
	v_fma_f64 v[252:253], v[236:237], s[28:29], v[250:251]
	v_add_f64 v[28:29], v[248:249], v[28:29]
	v_mul_f64 v[248:249], v[238:239], s[26:27]
	v_mul_f64 v[238:239], v[238:239], s[22:23]
	v_add_f64 v[30:31], v[252:253], v[30:31]
	v_fma_f64 v[250:251], v[12:13], s[14:15], v[248:249]
	v_fma_f64 v[248:249], v[12:13], s[14:15], -v[248:249]
	v_add_f64 v[34:35], v[250:251], v[34:35]
	v_mul_f64 v[250:251], v[14:15], s[14:15]
	v_add_f64 v[32:33], v[248:249], v[32:33]
	v_mul_f64 v[14:15], v[14:15], s[0:1]
	v_fma_f64 v[248:249], v[236:237], s[26:27], v[250:251]
	v_fma_f64 v[252:253], v[236:237], s[16:17], v[250:251]
	v_add_f64 v[250:251], v[208:209], -v[212:213]
	v_add_f64 v[36:37], v[248:249], v[36:37]
	v_fma_f64 v[248:249], v[12:13], s[0:1], v[238:239]
	v_fma_f64 v[12:13], v[12:13], s[0:1], -v[238:239]
	v_add_f64 v[38:39], v[252:253], v[38:39]
	v_add_f64 v[40:41], v[248:249], v[40:41]
	v_fma_f64 v[248:249], v[236:237], s[2:3], v[14:15]
	v_add_f64 v[8:9], v[12:13], v[8:9]
	v_fma_f64 v[12:13], v[236:237], s[22:23], v[14:15]
	v_add_f64 v[14:15], v[230:231], v[234:235]
	v_add_f64 v[230:231], v[230:231], -v[234:235]
	v_add_f64 v[42:43], v[248:249], v[42:43]
	v_add_f64 v[10:11], v[12:13], v[10:11]
	v_add_f64 v[12:13], v[228:229], v[232:233]
	v_add_f64 v[228:229], v[228:229], -v[232:233]
	v_mul_f64 v[232:233], v[230:231], s[16:17]
	v_fma_f64 v[234:235], v[12:13], s[14:15], v[232:233]
	v_fma_f64 v[232:233], v[12:13], s[14:15], -v[232:233]
	v_add_f64 v[18:19], v[234:235], v[18:19]
	v_mul_f64 v[234:235], v[14:15], s[14:15]
	v_add_f64 v[16:17], v[232:233], v[16:17]
	v_fma_f64 v[232:233], v[228:229], s[16:17], v[234:235]
	v_fma_f64 v[236:237], v[228:229], s[26:27], v[234:235]
	v_add_f64 v[20:21], v[232:233], v[20:21]
	v_mul_f64 v[232:233], v[230:231], s[34:35]
	v_add_f64 v[22:23], v[236:237], v[22:23]
	v_mul_f64 v[236:237], v[14:15], s[24:25]
	v_fma_f64 v[234:235], v[12:13], s[24:25], v[232:233]
	v_fma_f64 v[232:233], v[12:13], s[24:25], -v[232:233]
	v_fma_f64 v[238:239], v[228:229], s[28:29], v[236:237]
	v_fma_f64 v[236:237], v[228:229], s[34:35], v[236:237]
	v_add_f64 v[234:235], v[234:235], v[242:243]
	v_add_f64 v[232:233], v[232:233], v[240:241]
	v_mul_f64 v[240:241], v[230:231], s[30:31]
	v_add_f64 v[236:237], v[236:237], v[244:245]
	v_add_f64 v[238:239], v[238:239], v[246:247]
	v_fma_f64 v[242:243], v[12:13], s[4:5], v[240:241]
	v_fma_f64 v[240:241], v[12:13], s[4:5], -v[240:241]
	v_add_f64 v[26:27], v[242:243], v[26:27]
	v_mul_f64 v[242:243], v[14:15], s[4:5]
	v_add_f64 v[24:25], v[240:241], v[24:25]
	v_fma_f64 v[240:241], v[228:229], s[30:31], v[242:243]
	v_fma_f64 v[244:245], v[228:229], s[12:13], v[242:243]
	v_add_f64 v[28:29], v[240:241], v[28:29]
	v_mul_f64 v[240:241], v[230:231], s[2:3]
	v_mul_f64 v[230:231], v[230:231], s[20:21]
	v_add_f64 v[30:31], v[244:245], v[30:31]
	v_fma_f64 v[242:243], v[12:13], s[0:1], v[240:241]
	v_fma_f64 v[240:241], v[12:13], s[0:1], -v[240:241]
	v_add_f64 v[34:35], v[242:243], v[34:35]
	v_mul_f64 v[242:243], v[14:15], s[0:1]
	v_add_f64 v[32:33], v[240:241], v[32:33]
	v_mul_f64 v[14:15], v[14:15], s[18:19]
	v_fma_f64 v[240:241], v[228:229], s[2:3], v[242:243]
	v_fma_f64 v[244:245], v[228:229], s[22:23], v[242:243]
	v_add_f64 v[36:37], v[240:241], v[36:37]
	v_fma_f64 v[240:241], v[12:13], s[18:19], v[230:231]
	v_fma_f64 v[12:13], v[12:13], s[18:19], -v[230:231]
	v_add_f64 v[38:39], v[244:245], v[38:39]
	v_add_f64 v[244:245], v[210:211], -v[214:215]
	v_add_f64 v[40:41], v[240:241], v[40:41]
	v_fma_f64 v[240:241], v[228:229], s[36:37], v[14:15]
	v_add_f64 v[8:9], v[12:13], v[8:9]
	v_fma_f64 v[12:13], v[228:229], s[20:21], v[14:15]
	v_add_f64 v[14:15], v[222:223], v[226:227]
	v_add_f64 v[222:223], v[222:223], -v[226:227]
	v_add_f64 v[42:43], v[240:241], v[42:43]
	v_add_f64 v[10:11], v[12:13], v[10:11]
	;; [unrolled: 1-line block ×3, first 2 shown]
	v_add_f64 v[220:221], v[220:221], -v[224:225]
	v_mul_f64 v[224:225], v[222:223], s[20:21]
	v_fma_f64 v[226:227], v[12:13], s[18:19], v[224:225]
	v_fma_f64 v[224:225], v[12:13], s[18:19], -v[224:225]
	v_add_f64 v[18:19], v[226:227], v[18:19]
	v_mul_f64 v[226:227], v[14:15], s[18:19]
	v_add_f64 v[16:17], v[224:225], v[16:17]
	v_fma_f64 v[224:225], v[220:221], s[20:21], v[226:227]
	v_fma_f64 v[228:229], v[220:221], s[36:37], v[226:227]
	v_add_f64 v[20:21], v[224:225], v[20:21]
	v_mul_f64 v[224:225], v[222:223], s[26:27]
	v_add_f64 v[22:23], v[228:229], v[22:23]
	v_mul_f64 v[228:229], v[14:15], s[14:15]
	v_fma_f64 v[226:227], v[12:13], s[14:15], v[224:225]
	v_fma_f64 v[224:225], v[12:13], s[14:15], -v[224:225]
	v_fma_f64 v[230:231], v[220:221], s[16:17], v[228:229]
	v_fma_f64 v[228:229], v[220:221], s[26:27], v[228:229]
	v_add_f64 v[226:227], v[226:227], v[234:235]
	v_add_f64 v[224:225], v[224:225], v[232:233]
	v_mul_f64 v[232:233], v[222:223], s[2:3]
	v_add_f64 v[228:229], v[228:229], v[236:237]
	v_add_f64 v[230:231], v[230:231], v[238:239]
	v_fma_f64 v[234:235], v[12:13], s[0:1], v[232:233]
	v_fma_f64 v[232:233], v[12:13], s[0:1], -v[232:233]
	v_add_f64 v[26:27], v[234:235], v[26:27]
	v_mul_f64 v[234:235], v[14:15], s[0:1]
	v_add_f64 v[24:25], v[232:233], v[24:25]
	v_fma_f64 v[232:233], v[220:221], s[2:3], v[234:235]
	v_fma_f64 v[236:237], v[220:221], s[22:23], v[234:235]
	v_add_f64 v[28:29], v[232:233], v[28:29]
	v_mul_f64 v[232:233], v[222:223], s[28:29]
	v_mul_f64 v[222:223], v[222:223], s[30:31]
	v_add_f64 v[30:31], v[236:237], v[30:31]
	v_fma_f64 v[234:235], v[12:13], s[24:25], v[232:233]
	v_fma_f64 v[232:233], v[12:13], s[24:25], -v[232:233]
	v_add_f64 v[34:35], v[234:235], v[34:35]
	v_mul_f64 v[234:235], v[14:15], s[24:25]
	v_add_f64 v[32:33], v[232:233], v[32:33]
	v_mul_f64 v[14:15], v[14:15], s[4:5]
	v_fma_f64 v[232:233], v[220:221], s[28:29], v[234:235]
	v_fma_f64 v[236:237], v[220:221], s[34:35], v[234:235]
	v_add_f64 v[36:37], v[232:233], v[36:37]
	v_fma_f64 v[232:233], v[12:13], s[4:5], v[222:223]
	v_fma_f64 v[12:13], v[12:13], s[4:5], -v[222:223]
	v_add_f64 v[38:39], v[236:237], v[38:39]
	v_add_f64 v[40:41], v[232:233], v[40:41]
	;; [unrolled: 1-line block ×3, first 2 shown]
	v_fma_f64 v[12:13], v[220:221], s[30:31], v[14:15]
	v_fma_f64 v[232:233], v[220:221], s[12:13], v[14:15]
	v_add_f64 v[14:15], v[210:211], v[214:215]
	v_add_f64 v[10:11], v[12:13], v[10:11]
	;; [unrolled: 1-line block ×3, first 2 shown]
	v_mul_f64 v[212:213], v[244:245], s[28:29]
	v_add_f64 v[42:43], v[232:233], v[42:43]
	v_fma_f64 v[208:209], v[12:13], s[24:25], v[212:213]
	v_add_f64 v[208:209], v[208:209], v[18:19]
	v_mul_f64 v[18:19], v[14:15], s[24:25]
	v_fma_f64 v[210:211], v[250:251], s[34:35], v[18:19]
	v_add_f64 v[210:211], v[210:211], v[22:23]
	v_fma_f64 v[22:23], v[12:13], s[24:25], -v[212:213]
	v_add_f64 v[212:213], v[22:23], v[16:17]
	v_fma_f64 v[16:17], v[250:251], s[28:29], v[18:19]
	v_add_f64 v[214:215], v[16:17], v[20:21]
	v_mul_f64 v[16:17], v[244:245], s[22:23]
	v_fma_f64 v[18:19], v[12:13], s[0:1], v[16:17]
	v_fma_f64 v[16:17], v[12:13], s[0:1], -v[16:17]
	v_add_f64 v[220:221], v[18:19], v[226:227]
	v_mul_f64 v[18:19], v[14:15], s[0:1]
	v_add_f64 v[224:225], v[16:17], v[224:225]
	v_fma_f64 v[16:17], v[250:251], s[22:23], v[18:19]
	v_fma_f64 v[20:21], v[250:251], s[2:3], v[18:19]
	v_add_f64 v[226:227], v[16:17], v[228:229]
	v_mul_f64 v[16:17], v[244:245], s[20:21]
	v_add_f64 v[222:223], v[20:21], v[230:231]
	v_fma_f64 v[18:19], v[12:13], s[18:19], v[16:17]
	v_fma_f64 v[16:17], v[12:13], s[18:19], -v[16:17]
	v_add_f64 v[228:229], v[18:19], v[26:27]
	v_mul_f64 v[18:19], v[14:15], s[18:19]
	v_add_f64 v[232:233], v[16:17], v[24:25]
	v_fma_f64 v[16:17], v[250:251], s[20:21], v[18:19]
	v_fma_f64 v[20:21], v[250:251], s[36:37], v[18:19]
	v_add_f64 v[234:235], v[16:17], v[28:29]
	v_mul_f64 v[16:17], v[244:245], s[30:31]
	v_add_f64 v[230:231], v[20:21], v[30:31]
	v_fma_f64 v[18:19], v[12:13], s[4:5], v[16:17]
	v_fma_f64 v[16:17], v[12:13], s[4:5], -v[16:17]
	v_add_f64 v[236:237], v[18:19], v[34:35]
	v_mul_f64 v[18:19], v[14:15], s[4:5]
	v_add_f64 v[240:241], v[16:17], v[32:33]
	v_mul_f64 v[14:15], v[14:15], s[14:15]
	v_fma_f64 v[16:17], v[250:251], s[30:31], v[18:19]
	v_fma_f64 v[20:21], v[250:251], s[12:13], v[18:19]
	v_add_f64 v[242:243], v[16:17], v[36:37]
	v_mul_f64 v[16:17], v[244:245], s[16:17]
	v_add_f64 v[238:239], v[20:21], v[38:39]
	v_fma_f64 v[18:19], v[12:13], s[14:15], v[16:17]
	v_fma_f64 v[12:13], v[12:13], s[14:15], -v[16:17]
	v_add_f64 v[244:245], v[18:19], v[40:41]
	v_fma_f64 v[18:19], v[250:251], s[26:27], v[14:15]
	v_add_f64 v[248:249], v[12:13], v[8:9]
	v_fma_f64 v[8:9], v[250:251], s[16:17], v[14:15]
	v_add_f64 v[246:247], v[18:19], v[42:43]
	v_add_f64 v[250:251], v[8:9], v[10:11]
	ds_write_b128 v6, v[216:219]
	ds_write_b128 v6, v[208:211] offset:16
	ds_write_b128 v6, v[220:223] offset:32
	ds_write_b128 v6, v[228:231] offset:48
	ds_write_b128 v6, v[236:239] offset:64
	ds_write_b128 v6, v[244:247] offset:80
	ds_write_b128 v6, v[248:251] offset:96
	ds_write_b128 v6, v[240:243] offset:112
	ds_write_b128 v6, v[232:235] offset:128
	ds_write_b128 v6, v[224:227] offset:144
	ds_write_b128 v6, v[212:215] offset:160
	s_and_saveexec_b64 s[36:37], vcc
	s_cbranch_execz .LBB0_13
; %bb.12:
	v_add_f64 v[8:9], v[196:197], -v[44:45]
	v_add_f64 v[16:17], v[198:199], -v[46:47]
	;; [unrolled: 1-line block ×3, first 2 shown]
	v_add_f64 v[18:19], v[198:199], v[46:47]
	v_add_f64 v[28:29], v[202:203], -v[50:51]
	v_add_f64 v[30:31], v[196:197], v[44:45]
	v_add_f64 v[22:23], v[204:205], -v[56:57]
	v_add_f64 v[26:27], v[202:203], v[50:51]
	v_mul_f64 v[20:21], v[8:9], s[28:29]
	v_mul_f64 v[32:33], v[16:17], s[28:29]
	;; [unrolled: 1-line block ×3, first 2 shown]
	v_add_f64 v[40:41], v[206:207], -v[58:59]
	v_add_f64 v[42:43], v[200:201], v[48:49]
	v_mul_f64 v[214:215], v[28:29], s[22:23]
	v_add_f64 v[12:13], v[52:53], -v[60:61]
	v_add_f64 v[24:25], v[206:207], v[58:59]
	v_fma_f64 v[36:37], v[18:19], s[24:25], v[20:21]
	v_fma_f64 v[216:217], v[30:31], s[24:25], -v[32:33]
	v_mul_f64 v[212:213], v[22:23], s[20:21]
	v_fma_f64 v[218:219], v[26:27], s[0:1], v[34:35]
	v_add_f64 v[236:237], v[54:55], -v[62:63]
	v_add_f64 v[238:239], v[204:205], v[56:57]
	v_mul_f64 v[222:223], v[40:41], s[20:21]
	v_fma_f64 v[224:225], v[42:43], s[0:1], -v[214:215]
	v_add_f64 v[36:37], v[194:195], v[36:37]
	v_add_f64 v[216:217], v[192:193], v[216:217]
	v_add_f64 v[10:11], v[64:65], -v[68:69]
	v_add_f64 v[210:211], v[54:55], v[62:63]
	v_add_f64 v[38:39], v[66:67], -v[70:71]
	v_mul_f64 v[220:221], v[12:13], s[30:31]
	v_fma_f64 v[226:227], v[24:25], s[18:19], v[212:213]
	v_add_f64 v[240:241], v[52:53], v[60:61]
	v_add_f64 v[36:37], v[218:219], v[36:37]
	v_mul_f64 v[228:229], v[236:237], s[30:31]
	v_fma_f64 v[20:21], v[18:19], s[24:25], -v[20:21]
	v_fma_f64 v[230:231], v[238:239], s[18:19], -v[222:223]
	v_add_f64 v[216:217], v[224:225], v[216:217]
	v_add_f64 v[208:209], v[66:67], v[70:71]
	v_mul_f64 v[218:219], v[10:11], s[16:17]
	v_fma_f64 v[224:225], v[210:211], s[4:5], v[220:221]
	v_add_f64 v[36:37], v[226:227], v[36:37]
	v_add_f64 v[242:243], v[64:65], v[68:69]
	v_mul_f64 v[226:227], v[38:39], s[16:17]
	v_fma_f64 v[34:35], v[26:27], s[0:1], -v[34:35]
	v_add_f64 v[20:21], v[194:195], v[20:21]
	v_fma_f64 v[232:233], v[240:241], s[4:5], -v[228:229]
	v_add_f64 v[216:217], v[230:231], v[216:217]
	v_fma_f64 v[230:231], v[208:209], s[14:15], v[218:219]
	v_add_f64 v[36:37], v[224:225], v[36:37]
	v_fma_f64 v[212:213], v[24:25], s[18:19], -v[212:213]
	v_fma_f64 v[32:33], v[30:31], s[24:25], v[32:33]
	v_fma_f64 v[220:221], v[210:211], s[4:5], -v[220:221]
	v_add_f64 v[20:21], v[34:35], v[20:21]
	v_fma_f64 v[34:35], v[242:243], s[14:15], -v[226:227]
	v_add_f64 v[216:217], v[232:233], v[216:217]
	v_fma_f64 v[224:225], v[42:43], s[0:1], v[214:215]
	v_add_f64 v[36:37], v[230:231], v[36:37]
	v_mul_f64 v[234:235], v[40:41], s[2:3]
	v_add_f64 v[32:33], v[192:193], v[32:33]
	v_mul_f64 v[246:247], v[12:13], s[28:29]
	v_add_f64 v[20:21], v[212:213], v[20:21]
	v_mov_b32_e32 v5, v2
	v_add_f64 v[34:35], v[34:35], v[216:217]
	v_fma_f64 v[216:217], v[238:239], s[18:19], v[222:223]
	buffer_store_dword v34, off, s[44:47], 0 offset:200 ; 4-byte Folded Spill
	s_nop 0
	buffer_store_dword v35, off, s[44:47], 0 offset:204 ; 4-byte Folded Spill
	buffer_store_dword v36, off, s[44:47], 0 offset:208 ; 4-byte Folded Spill
	;; [unrolled: 1-line block ×3, first 2 shown]
	v_mul_f64 v[34:35], v[8:9], s[20:21]
	v_fma_f64 v[36:37], v[208:209], s[14:15], -v[218:219]
	v_mul_f64 v[218:219], v[16:17], s[20:21]
	v_add_f64 v[32:33], v[224:225], v[32:33]
	v_add_f64 v[20:21], v[220:221], v[20:21]
	v_fma_f64 v[220:221], v[242:243], s[14:15], v[226:227]
	v_mul_f64 v[222:223], v[14:15], s[26:27]
	v_fma_f64 v[226:227], v[240:241], s[4:5], v[228:229]
	v_fma_f64 v[224:225], v[18:19], s[18:19], v[34:35]
	v_mul_f64 v[228:229], v[28:29], s[26:27]
	v_fma_f64 v[230:231], v[30:31], s[18:19], -v[218:219]
	v_fma_f64 v[34:35], v[18:19], s[18:19], -v[34:35]
	v_add_f64 v[32:33], v[216:217], v[32:33]
	v_mul_f64 v[216:217], v[22:23], s[2:3]
	v_fma_f64 v[232:233], v[26:27], s[14:15], v[222:223]
	v_fma_f64 v[222:223], v[26:27], s[14:15], -v[222:223]
	v_add_f64 v[224:225], v[194:195], v[224:225]
	v_fma_f64 v[244:245], v[42:43], s[14:15], -v[228:229]
	v_add_f64 v[230:231], v[192:193], v[230:231]
	v_add_f64 v[34:35], v[194:195], v[34:35]
	v_fma_f64 v[250:251], v[238:239], s[0:1], -v[234:235]
	v_fma_f64 v[248:249], v[24:25], s[0:1], v[216:217]
	v_fma_f64 v[216:217], v[24:25], s[0:1], -v[216:217]
	v_add_f64 v[32:33], v[226:227], v[32:33]
	v_add_f64 v[224:225], v[232:233], v[224:225]
	v_mul_f64 v[232:233], v[236:237], s[28:29]
	v_add_f64 v[230:231], v[244:245], v[230:231]
	v_add_f64 v[34:35], v[222:223], v[34:35]
	v_mul_f64 v[222:223], v[10:11], s[30:31]
	v_fma_f64 v[244:245], v[210:211], s[24:25], v[246:247]
	v_fma_f64 v[246:247], v[210:211], s[24:25], -v[246:247]
	v_add_f64 v[214:215], v[36:37], v[20:21]
	v_add_f64 v[224:225], v[248:249], v[224:225]
	v_fma_f64 v[252:253], v[240:241], s[24:25], -v[232:233]
	v_add_f64 v[230:231], v[250:251], v[230:231]
	v_add_f64 v[34:35], v[216:217], v[34:35]
	;; [unrolled: 1-line block ×3, first 2 shown]
	v_mul_f64 v[248:249], v[38:39], s[30:31]
	v_fma_f64 v[226:227], v[208:209], s[4:5], v[222:223]
	v_fma_f64 v[250:251], v[30:31], s[18:19], v[218:219]
	v_add_f64 v[224:225], v[244:245], v[224:225]
	buffer_store_dword v212, off, s[44:47], 0 offset:216 ; 4-byte Folded Spill
	s_nop 0
	buffer_store_dword v213, off, s[44:47], 0 offset:220 ; 4-byte Folded Spill
	buffer_store_dword v214, off, s[44:47], 0 offset:224 ; 4-byte Folded Spill
	;; [unrolled: 1-line block ×3, first 2 shown]
	v_add_f64 v[230:231], v[252:253], v[230:231]
	v_fma_f64 v[252:253], v[208:209], s[4:5], -v[222:223]
	v_add_f64 v[34:35], v[246:247], v[34:35]
	v_fma_f64 v[244:245], v[242:243], s[4:5], -v[248:249]
	v_fma_f64 v[20:21], v[42:43], s[14:15], v[228:229]
	v_mul_f64 v[32:33], v[8:9], s[16:17]
	v_add_f64 v[36:37], v[192:193], v[250:251]
	v_add_f64 v[214:215], v[226:227], v[224:225]
	v_fma_f64 v[224:225], v[238:239], s[0:1], v[234:235]
	v_mul_f64 v[228:229], v[14:15], s[34:35]
	v_add_f64 v[226:227], v[252:253], v[34:35]
	v_mul_f64 v[34:35], v[16:17], s[16:17]
	v_add_f64 v[212:213], v[244:245], v[230:231]
	v_fma_f64 v[230:231], v[18:19], s[14:15], v[32:33]
	v_add_f64 v[20:21], v[20:21], v[36:37]
	v_mul_f64 v[234:235], v[28:29], s[34:35]
	v_fma_f64 v[36:37], v[242:243], s[4:5], v[248:249]
	v_mul_f64 v[246:247], v[22:23], s[30:31]
	v_fma_f64 v[248:249], v[26:27], s[24:25], v[228:229]
	v_fma_f64 v[244:245], v[30:31], s[14:15], -v[34:35]
	v_mul_f64 v[250:251], v[40:41], s[30:31]
	v_add_f64 v[230:231], v[194:195], v[230:231]
	v_add_f64 v[20:21], v[224:225], v[20:21]
	v_fma_f64 v[32:33], v[18:19], s[14:15], -v[32:33]
	v_fma_f64 v[224:225], v[42:43], s[24:25], -v[234:235]
	buffer_store_dword v212, off, s[44:47], 0 offset:232 ; 4-byte Folded Spill
	s_nop 0
	buffer_store_dword v213, off, s[44:47], 0 offset:236 ; 4-byte Folded Spill
	buffer_store_dword v214, off, s[44:47], 0 offset:240 ; 4-byte Folded Spill
	;; [unrolled: 1-line block ×3, first 2 shown]
	v_fma_f64 v[232:233], v[240:241], s[24:25], v[232:233]
	v_add_f64 v[244:245], v[192:193], v[244:245]
	v_mul_f64 v[252:253], v[12:13], s[2:3]
	v_fma_f64 v[254:255], v[24:25], s[4:5], v[246:247]
	v_add_f64 v[230:231], v[248:249], v[230:231]
	v_mul_f64 v[248:249], v[236:237], s[2:3]
	v_fma_f64 v[228:229], v[26:27], s[24:25], -v[228:229]
	v_add_f64 v[32:33], v[194:195], v[32:33]
	v_fma_f64 v[6:7], v[238:239], s[4:5], -v[250:251]
	v_add_f64 v[224:225], v[224:225], v[244:245]
	v_mov_b32_e32 v223, v135
	v_mov_b32_e32 v222, v134
	;; [unrolled: 1-line block ×57, first 2 shown]
	v_mul_f64 v[244:245], v[10:11], s[20:21]
	v_mov_b32_e32 v82, v46
	v_mov_b32_e32 v81, v45
	;; [unrolled: 1-line block ×3, first 2 shown]
	v_fma_f64 v[44:45], v[210:211], s[0:1], v[252:253]
	v_add_f64 v[46:47], v[254:255], v[230:231]
	v_mul_f64 v[254:255], v[38:39], s[20:21]
	v_fma_f64 v[230:231], v[24:25], s[4:5], -v[246:247]
	v_add_f64 v[32:33], v[228:229], v[32:33]
	v_fma_f64 v[228:229], v[240:241], s[0:1], -v[248:249]
	v_add_f64 v[6:7], v[6:7], v[224:225]
	v_add_f64 v[20:21], v[232:233], v[20:21]
	v_fma_f64 v[34:35], v[30:31], s[14:15], v[34:35]
	v_fma_f64 v[232:233], v[208:209], s[18:19], v[244:245]
	v_add_f64 v[44:45], v[44:45], v[46:47]
	v_fma_f64 v[46:47], v[210:211], s[0:1], -v[252:253]
	v_add_f64 v[32:33], v[230:231], v[32:33]
	v_fma_f64 v[246:247], v[242:243], s[18:19], -v[254:255]
	v_add_f64 v[6:7], v[228:229], v[6:7]
	v_add_f64 v[224:225], v[36:37], v[20:21]
	v_fma_f64 v[36:37], v[42:43], s[24:25], v[234:235]
	v_add_f64 v[34:35], v[192:193], v[34:35]
	v_fma_f64 v[20:21], v[208:209], s[18:19], -v[244:245]
	v_mul_f64 v[244:245], v[8:9], s[12:13]
	v_add_f64 v[32:33], v[46:47], v[32:33]
	v_add_f64 v[230:231], v[232:233], v[44:45]
	;; [unrolled: 1-line block ×3, first 2 shown]
	v_mul_f64 v[6:7], v[16:17], s[12:13]
	v_fma_f64 v[44:45], v[238:239], s[4:5], v[250:251]
	v_add_f64 v[34:35], v[36:37], v[34:35]
	v_mul_f64 v[46:47], v[14:15], s[20:21]
	v_fma_f64 v[232:233], v[18:19], s[4:5], v[244:245]
	v_add_f64 v[234:235], v[20:21], v[32:33]
	v_fma_f64 v[20:21], v[240:241], s[0:1], v[248:249]
	v_mul_f64 v[32:33], v[28:29], s[20:21]
	v_fma_f64 v[36:37], v[30:31], s[4:5], -v[6:7]
	v_mul_f64 v[246:247], v[22:23], s[34:35]
	v_add_f64 v[34:35], v[44:45], v[34:35]
	v_fma_f64 v[248:249], v[26:27], s[18:19], v[46:47]
	v_add_f64 v[232:233], v[194:195], v[232:233]
	v_mul_f64 v[250:251], v[40:41], s[34:35]
	v_mov_b32_e32 v161, v151
	v_fma_f64 v[252:253], v[42:43], s[18:19], -v[32:33]
	v_add_f64 v[36:37], v[192:193], v[36:37]
	v_mov_b32_e32 v160, v150
	v_add_f64 v[20:21], v[20:21], v[34:35]
	v_fma_f64 v[34:35], v[18:19], s[4:5], -v[244:245]
	v_mov_b32_e32 v159, v149
	v_mov_b32_e32 v158, v148
	v_mov_b32_e32 v151, v139
	v_mov_b32_e32 v150, v138
	v_mov_b32_e32 v149, v137
	v_mov_b32_e32 v148, v136
	v_mov_b32_e32 v139, v111
	v_mov_b32_e32 v138, v110
	v_mov_b32_e32 v137, v109
	v_mov_b32_e32 v136, v108
	v_mov_b32_e32 v111, v99
	v_mov_b32_e32 v110, v98
	v_mov_b32_e32 v109, v97
	v_mov_b32_e32 v108, v96
	v_mov_b32_e32 v99, v87
	v_mov_b32_e32 v98, v86
	v_mov_b32_e32 v97, v85
	v_mov_b32_e32 v96, v84
	v_mov_b32_e32 v87, v75
	v_mov_b32_e32 v86, v74
	v_mov_b32_e32 v85, v73
	v_mov_b32_e32 v84, v72
	v_mov_b32_e32 v75, v51
	v_fma_f64 v[44:45], v[242:243], s[18:19], v[254:255]
	v_mul_f64 v[254:255], v[12:13], s[26:27]
	v_mov_b32_e32 v74, v50
	v_mov_b32_e32 v73, v49
	v_mov_b32_e32 v72, v48
	v_fma_f64 v[48:49], v[24:25], s[24:25], v[246:247]
	v_add_f64 v[50:51], v[248:249], v[232:233]
	v_mul_f64 v[244:245], v[236:237], s[26:27]
	v_fma_f64 v[232:233], v[238:239], s[24:25], -v[250:251]
	v_add_f64 v[36:37], v[252:253], v[36:37]
	v_fma_f64 v[46:47], v[26:27], s[18:19], -v[46:47]
	v_add_f64 v[34:35], v[194:195], v[34:35]
	v_mov_b32_e32 v153, v1
	v_mov_b32_e32 v152, v0
	;; [unrolled: 1-line block ×27, first 2 shown]
	v_fma_f64 v[252:253], v[210:211], s[14:15], v[254:255]
	v_add_f64 v[48:49], v[48:49], v[50:51]
	v_fma_f64 v[52:53], v[240:241], s[14:15], -v[244:245]
	v_add_f64 v[36:37], v[232:233], v[36:37]
	v_add_f64 v[232:233], v[44:45], v[20:21]
	v_fma_f64 v[44:45], v[24:25], s[24:25], -v[246:247]
	v_fma_f64 v[6:7], v[30:31], s[4:5], v[6:7]
	v_add_f64 v[34:35], v[46:47], v[34:35]
	v_mul_f64 v[248:249], v[10:11], s[22:23]
	v_add_f64 v[54:55], v[252:253], v[48:49]
	v_fma_f64 v[46:47], v[210:211], s[14:15], -v[254:255]
	v_add_f64 v[36:37], v[52:53], v[36:37]
	v_mul_f64 v[8:9], v[8:9], s[2:3]
	v_fma_f64 v[32:33], v[42:43], s[18:19], v[32:33]
	v_add_f64 v[6:7], v[192:193], v[6:7]
	v_add_f64 v[34:35], v[44:45], v[34:35]
	;; [unrolled: 1-line block ×4, first 2 shown]
	v_fma_f64 v[44:45], v[208:209], s[0:1], -v[248:249]
	v_mul_f64 v[14:15], v[14:15], s[12:13]
	v_fma_f64 v[196:197], v[18:19], s[0:1], v[8:9]
	v_mul_f64 v[16:17], v[16:17], s[2:3]
	v_add_f64 v[6:7], v[32:33], v[6:7]
	v_add_f64 v[32:33], v[46:47], v[34:35]
	;; [unrolled: 1-line block ×4, first 2 shown]
	v_fma_f64 v[8:9], v[18:19], s[0:1], -v[8:9]
	v_mul_f64 v[18:19], v[28:29], s[12:13]
	v_add_f64 v[52:53], v[194:195], v[196:197]
	v_mul_f64 v[22:23], v[22:23], s[16:17]
	v_fma_f64 v[48:49], v[26:27], s[4:5], v[14:15]
	v_add_f64 v[196:197], v[44:45], v[32:33]
	v_add_f64 v[32:33], v[34:35], v[206:207]
	;; [unrolled: 1-line block ×3, first 2 shown]
	v_fma_f64 v[14:15], v[26:27], s[4:5], -v[14:15]
	v_add_f64 v[8:9], v[194:195], v[8:9]
	v_mul_f64 v[40:41], v[40:41], s[16:17]
	v_fma_f64 v[44:45], v[24:25], s[14:15], v[22:23]
	v_add_f64 v[46:47], v[48:49], v[52:53]
	v_fma_f64 v[26:27], v[42:43], s[4:5], v[18:19]
	v_add_f64 v[32:33], v[32:33], v[78:79]
	v_add_f64 v[34:35], v[34:35], v[76:77]
	v_mov_b32_e32 v76, v88
	v_mov_b32_e32 v77, v89
	;; [unrolled: 1-line block ×21, first 2 shown]
	buffer_load_dword v5, off, s[44:47], 0 offset:196 ; 4-byte Folded Reload
	v_add_f64 v[28:29], v[32:33], v[66:67]
	v_add_f64 v[32:33], v[34:35], v[64:65]
	v_fma_f64 v[34:35], v[30:31], s[0:1], v[16:17]
	v_fma_f64 v[16:17], v[30:31], s[0:1], -v[16:17]
	v_fma_f64 v[22:23], v[24:25], s[14:15], -v[22:23]
	v_add_f64 v[8:9], v[14:15], v[8:9]
	v_mul_f64 v[12:13], v[12:13], s[20:21]
	v_add_f64 v[44:45], v[44:45], v[46:47]
	v_add_f64 v[28:29], v[28:29], v[70:71]
	;; [unrolled: 1-line block ×4, first 2 shown]
	v_mul_f64 v[46:47], v[236:237], s[20:21]
	v_fma_f64 v[18:19], v[42:43], s[4:5], -v[18:19]
	v_add_f64 v[16:17], v[192:193], v[16:17]
	v_fma_f64 v[14:15], v[238:239], s[14:15], v[40:41]
	v_fma_f64 v[198:199], v[238:239], s[24:25], v[250:251]
	v_add_f64 v[24:25], v[28:29], v[62:63]
	v_add_f64 v[28:29], v[30:31], v[60:61]
	;; [unrolled: 1-line block ×4, first 2 shown]
	v_mul_f64 v[50:51], v[38:39], s[22:23]
	v_mul_f64 v[10:11], v[10:11], s[28:29]
	v_fma_f64 v[48:49], v[210:211], s[18:19], v[12:13]
	v_mul_f64 v[38:39], v[38:39], s[28:29]
	v_add_f64 v[22:23], v[24:25], v[58:59]
	v_add_f64 v[24:25], v[28:29], v[56:57]
	;; [unrolled: 1-line block ×3, first 2 shown]
	v_fma_f64 v[12:13], v[210:211], s[18:19], -v[12:13]
	v_fma_f64 v[18:19], v[240:241], s[18:19], v[46:47]
	v_add_f64 v[14:15], v[14:15], v[26:27]
	v_fma_f64 v[200:201], v[240:241], s[14:15], v[244:245]
	v_add_f64 v[6:7], v[198:199], v[6:7]
	v_add_f64 v[22:23], v[22:23], v[74:75]
	;; [unrolled: 1-line block ×3, first 2 shown]
	v_fma_f64 v[28:29], v[208:209], s[24:25], -v[10:11]
	v_add_f64 v[8:9], v[12:13], v[8:9]
	v_fma_f64 v[12:13], v[242:243], s[24:25], v[38:39]
	v_add_f64 v[14:15], v[18:19], v[14:15]
	v_fma_f64 v[198:199], v[242:243], s[0:1], v[50:51]
	v_add_f64 v[6:7], v[200:201], v[6:7]
	v_fma_f64 v[246:247], v[242:243], s[0:1], -v[50:51]
	v_add_f64 v[52:53], v[22:23], v[82:83]
	v_add_f64 v[50:51], v[24:25], v[80:81]
	v_fma_f64 v[26:27], v[240:241], s[18:19], -v[46:47]
	v_fma_f64 v[10:11], v[208:209], s[24:25], v[10:11]
	v_add_f64 v[18:19], v[48:49], v[44:45]
	v_add_f64 v[48:49], v[28:29], v[8:9]
	;; [unrolled: 1-line block ×4, first 2 shown]
	v_fma_f64 v[30:31], v[238:239], s[14:15], -v[40:41]
	v_fma_f64 v[20:21], v[208:209], s[0:1], v[248:249]
	v_mov_b32_e32 v72, v84
	v_mov_b32_e32 v73, v85
	v_add_f64 v[60:61], v[10:11], v[18:19]
	v_mov_b32_e32 v74, v86
	v_mov_b32_e32 v75, v87
	;; [unrolled: 1-line block ×3, first 2 shown]
	v_add_f64 v[16:17], v[30:31], v[16:17]
	v_fma_f64 v[30:31], v[242:243], s[24:25], -v[38:39]
	v_mov_b32_e32 v85, v97
	v_mov_b32_e32 v86, v98
	;; [unrolled: 1-line block ×6, first 2 shown]
	v_add_f64 v[16:17], v[26:27], v[16:17]
	v_mov_b32_e32 v99, v111
	v_mov_b32_e32 v108, v136
	;; [unrolled: 1-line block ×13, first 2 shown]
	s_waitcnt vmcnt(0)
	v_lshlrev_b32_e32 v6, 4, v5
	ds_write_b128 v6, v[50:53]
	ds_write_b128 v6, v[46:49] offset:16
	ds_write_b128 v6, v[194:197] offset:32
	;; [unrolled: 1-line block ×4, first 2 shown]
	buffer_load_dword v7, off, s[44:47], 0 offset:216 ; 4-byte Folded Reload
	buffer_load_dword v8, off, s[44:47], 0 offset:220 ; 4-byte Folded Reload
	;; [unrolled: 1-line block ×4, first 2 shown]
	v_mov_b32_e32 v81, v155
	v_mov_b32_e32 v82, v156
	v_mov_b32_e32 v83, v157
	v_mov_b32_e32 v152, v163
	v_mov_b32_e32 v3, v162
	v_mov_b32_e32 v149, v159
	v_mov_b32_e32 v150, v160
	v_mov_b32_e32 v151, v161
	v_mov_b32_e32 v156, v167
	v_mov_b32_e32 v153, v164
	v_mov_b32_e32 v154, v165
	v_mov_b32_e32 v155, v166
	v_mov_b32_e32 v160, v171
	v_add_f64 v[56:57], v[20:21], v[54:55]
	v_add_f64 v[54:55], v[246:247], v[36:37]
	v_mov_b32_e32 v157, v168
	v_mov_b32_e32 v158, v169
	;; [unrolled: 1-line block ×8, first 2 shown]
	v_add_f64 v[58:59], v[30:31], v[16:17]
	v_mov_b32_e32 v165, v176
	v_mov_b32_e32 v166, v177
	;; [unrolled: 1-line block ×38, first 2 shown]
	s_waitcnt vmcnt(0)
	ds_write_b128 v6, v[7:10] offset:80
	buffer_load_dword v7, off, s[44:47], 0 offset:200 ; 4-byte Folded Reload
	buffer_load_dword v8, off, s[44:47], 0 offset:204 ; 4-byte Folded Reload
	;; [unrolled: 1-line block ×4, first 2 shown]
	s_waitcnt vmcnt(0)
	ds_write_b128 v6, v[7:10] offset:96
	buffer_load_dword v7, off, s[44:47], 0 offset:232 ; 4-byte Folded Reload
	buffer_load_dword v8, off, s[44:47], 0 offset:236 ; 4-byte Folded Reload
	;; [unrolled: 1-line block ×4, first 2 shown]
	s_waitcnt vmcnt(0)
	ds_write_b128 v6, v[7:10] offset:112
	ds_write_b128 v6, v[228:231] offset:128
	ds_write_b128 v6, v[54:57] offset:144
	ds_write_b128 v6, v[58:61] offset:160
.LBB0_13:
	s_or_b64 exec, exec, s[36:37]
	s_waitcnt lgkmcnt(0)
	; wave barrier
	s_waitcnt lgkmcnt(0)
	ds_read_b128 v[44:47], v4
	ds_read_b128 v[48:51], v4 offset:880
	ds_read_b128 v[52:55], v4 offset:5280
	ds_read_b128 v[56:59], v4 offset:6160
	ds_read_b128 v[60:63], v4 offset:10560
	ds_read_b128 v[64:67], v4 offset:11440
	ds_read_b128 v[68:71], v4 offset:2640
	ds_read_b128 v[192:195], v4 offset:1760
	ds_read_b128 v[196:199], v4 offset:3520
	ds_read_b128 v[200:203], v4 offset:4400
	ds_read_b128 v[204:207], v4 offset:7920
	ds_read_b128 v[208:211], v4 offset:7040
	s_waitcnt lgkmcnt(9)
	v_mul_f64 v[10:11], v[82:83], v[54:55]
	ds_read_b128 v[212:215], v4 offset:8800
	ds_read_b128 v[216:219], v4 offset:9680
	;; [unrolled: 1-line block ×3, first 2 shown]
	s_waitcnt lgkmcnt(0)
	v_mul_f64 v[14:15], v[78:79], v[206:207]
	; wave barrier
	buffer_load_dword v5, off, s[44:47], 0 offset:188 ; 4-byte Folded Reload
	v_mul_f64 v[6:7], v[86:87], v[70:71]
	v_mul_f64 v[8:9], v[86:87], v[68:69]
	;; [unrolled: 1-line block ×4, first 2 shown]
	v_fma_f64 v[10:11], v[80:81], v[52:53], v[10:11]
	v_fma_f64 v[14:15], v[76:77], v[204:205], v[14:15]
	v_mul_f64 v[26:27], v[98:99], v[58:59]
	v_mul_f64 v[16:17], v[78:79], v[204:205]
	v_fma_f64 v[6:7], v[84:85], v[68:69], v[6:7]
	v_mul_f64 v[18:19], v[74:75], v[62:63]
	v_fma_f64 v[8:9], v[84:85], v[70:71], -v[8:9]
	v_fma_f64 v[12:13], v[80:81], v[54:55], -v[12:13]
	;; [unrolled: 1-line block ×3, first 2 shown]
	v_mul_f64 v[28:29], v[98:99], v[56:57]
	v_fma_f64 v[26:27], v[96:97], v[56:57], v[26:27]
	v_mul_f64 v[54:55], v[114:115], v[208:209]
	v_add_f64 v[56:57], v[10:11], v[14:15]
	v_fma_f64 v[16:17], v[76:77], v[206:207], -v[16:17]
	v_fma_f64 v[18:19], v[72:73], v[60:61], v[18:19]
	v_mul_f64 v[30:31], v[94:95], v[214:215]
	v_mul_f64 v[32:33], v[94:95], v[212:213]
	;; [unrolled: 1-line block ×4, first 2 shown]
	v_fma_f64 v[28:29], v[96:97], v[58:59], -v[28:29]
	v_add_f64 v[52:53], v[44:45], v[6:7]
	v_mul_f64 v[58:59], v[110:111], v[218:219]
	v_mul_f64 v[60:61], v[110:111], v[216:217]
	v_fma_f64 v[86:87], v[112:113], v[210:211], -v[54:55]
	v_fma_f64 v[54:55], v[56:57], -0.5, v[44:45]
	v_add_f64 v[56:57], v[8:9], -v[20:21]
	s_mov_b32 s0, 0x134454ff
	s_mov_b32 s1, 0xbfee6f0e
	v_fma_f64 v[30:31], v[92:93], v[212:213], v[30:31]
	v_fma_f64 v[32:33], v[92:93], v[214:215], -v[32:33]
	v_fma_f64 v[34:35], v[88:89], v[64:65], v[34:35]
	v_fma_f64 v[36:37], v[88:89], v[66:67], -v[36:37]
	v_add_f64 v[52:53], v[52:53], v[10:11]
	v_fma_f64 v[90:91], v[108:109], v[216:217], v[58:59]
	v_fma_f64 v[92:93], v[108:109], v[218:219], -v[60:61]
	v_mul_f64 v[58:59], v[102:103], v[222:223]
	v_mul_f64 v[60:61], v[102:103], v[220:221]
	v_fma_f64 v[62:63], v[56:57], s[0:1], v[54:55]
	v_add_f64 v[64:65], v[12:13], -v[16:17]
	v_add_f64 v[66:67], v[6:7], v[18:19]
	v_add_f64 v[68:69], v[6:7], -v[10:11]
	v_add_f64 v[70:71], v[18:19], -v[14:15]
	s_mov_b32 s2, 0x4755a5e
	s_mov_b32 s3, 0xbfe2cf23
	;; [unrolled: 1-line block ×4, first 2 shown]
	v_add_f64 v[52:53], v[52:53], v[14:15]
	v_fma_f64 v[94:95], v[100:101], v[220:221], v[58:59]
	v_fma_f64 v[98:99], v[100:101], v[222:223], -v[60:61]
	v_fma_f64 v[44:45], v[66:67], -0.5, v[44:45]
	v_fma_f64 v[58:59], v[64:65], s[2:3], v[62:63]
	v_add_f64 v[60:61], v[68:69], v[70:71]
	v_add_f64 v[62:63], v[46:47], v[8:9]
	;; [unrolled: 1-line block ×3, first 2 shown]
	v_fma_f64 v[54:55], v[56:57], s[4:5], v[54:55]
	v_add_f64 v[70:71], v[10:11], -v[6:7]
	v_add_f64 v[72:73], v[14:15], -v[18:19]
	s_mov_b32 s13, 0x3fe2cf23
	s_mov_b32 s12, s2
	v_mul_f64 v[22:23], v[106:107], v[198:199]
	v_add_f64 v[52:53], v[52:53], v[18:19]
	v_fma_f64 v[68:69], v[64:65], s[4:5], v[44:45]
	v_fma_f64 v[44:45], v[64:65], s[0:1], v[44:45]
	v_add_f64 v[62:63], v[62:63], v[12:13]
	v_fma_f64 v[66:67], v[66:67], -0.5, v[46:47]
	v_add_f64 v[6:7], v[6:7], -v[18:19]
	v_fma_f64 v[18:19], v[64:65], s[12:13], v[54:55]
	v_add_f64 v[64:65], v[70:71], v[72:73]
	v_add_f64 v[72:73], v[8:9], v[20:21]
	v_fma_f64 v[22:23], v[104:105], v[196:197], v[22:23]
	v_fma_f64 v[54:55], v[56:57], s[2:3], v[68:69]
	v_add_f64 v[62:63], v[62:63], v[16:17]
	v_add_f64 v[10:11], v[10:11], -v[14:15]
	v_fma_f64 v[70:71], v[6:7], s[4:5], v[66:67]
	v_mul_f64 v[24:25], v[106:107], v[196:197]
	v_fma_f64 v[68:69], v[56:57], s[12:13], v[44:45]
	v_fma_f64 v[14:15], v[72:73], -0.5, v[46:47]
	s_mov_b32 s14, 0x372fe950
	s_mov_b32 s15, 0x3fd3c6ef
	v_fma_f64 v[44:45], v[60:61], s[14:15], v[58:59]
	v_add_f64 v[46:47], v[8:9], -v[12:13]
	v_add_f64 v[58:59], v[20:21], -v[16:17]
	v_fma_f64 v[56:57], v[60:61], s[14:15], v[18:19]
	v_fma_f64 v[60:61], v[64:65], s[14:15], v[54:55]
	v_add_f64 v[54:55], v[62:63], v[20:21]
	v_fma_f64 v[18:19], v[10:11], s[12:13], v[70:71]
	v_add_f64 v[62:63], v[48:49], v[22:23]
	v_fma_f64 v[70:71], v[10:11], s[0:1], v[14:15]
	v_add_f64 v[8:9], v[12:13], -v[8:9]
	v_add_f64 v[12:13], v[16:17], -v[20:21]
	v_fma_f64 v[14:15], v[10:11], s[4:5], v[14:15]
	v_fma_f64 v[66:67], v[6:7], s[0:1], v[66:67]
	v_fma_f64 v[24:25], v[104:105], v[198:199], -v[24:25]
	v_fma_f64 v[64:65], v[64:65], s[14:15], v[68:69]
	v_add_f64 v[68:69], v[26:27], v[30:31]
	v_add_f64 v[16:17], v[46:47], v[58:59]
	;; [unrolled: 1-line block ×3, first 2 shown]
	v_fma_f64 v[62:63], v[6:7], s[12:13], v[70:71]
	v_add_f64 v[8:9], v[8:9], v[12:13]
	v_fma_f64 v[6:7], v[6:7], s[2:3], v[14:15]
	v_fma_f64 v[10:11], v[10:11], s[2:3], v[66:67]
	v_add_f64 v[12:13], v[22:23], v[34:35]
	v_fma_f64 v[68:69], v[68:69], -0.5, v[48:49]
	v_add_f64 v[74:75], v[24:25], -v[36:37]
	v_fma_f64 v[46:47], v[16:17], s[14:15], v[18:19]
	v_add_f64 v[14:15], v[20:21], v[30:31]
	v_fma_f64 v[62:63], v[8:9], s[14:15], v[62:63]
	v_fma_f64 v[66:67], v[8:9], s[14:15], v[6:7]
	;; [unrolled: 1-line block ×3, first 2 shown]
	v_add_f64 v[16:17], v[28:29], -v[32:33]
	v_fma_f64 v[6:7], v[12:13], -0.5, v[48:49]
	v_fma_f64 v[10:11], v[74:75], s[0:1], v[68:69]
	v_add_f64 v[8:9], v[22:23], -v[26:27]
	v_add_f64 v[12:13], v[34:35], -v[30:31]
	s_waitcnt vmcnt(0)
	ds_write_b128 v5, v[52:55]
	ds_write_b128 v5, v[44:47] offset:176
	ds_write_b128 v5, v[60:63] offset:352
	ds_write_b128 v5, v[64:67] offset:528
	ds_write_b128 v5, v[56:59] offset:704
	buffer_load_dword v5, off, s[44:47], 0 offset:192 ; 4-byte Folded Reload
	v_mul_f64 v[42:43], v[114:115], v[210:211]
	v_add_f64 v[48:49], v[14:15], v[34:35]
	v_fma_f64 v[14:15], v[74:75], s[4:5], v[68:69]
	v_add_f64 v[18:19], v[50:51], v[24:25]
	v_add_f64 v[20:21], v[28:29], v[32:33]
	v_fma_f64 v[68:69], v[16:17], s[4:5], v[6:7]
	v_add_f64 v[70:71], v[26:27], -v[22:23]
	v_add_f64 v[72:73], v[30:31], -v[34:35]
	v_fma_f64 v[10:11], v[16:17], s[2:3], v[10:11]
	v_add_f64 v[8:9], v[8:9], v[12:13]
	v_fma_f64 v[6:7], v[16:17], s[0:1], v[6:7]
	v_mul_f64 v[40:41], v[118:119], v[200:201]
	v_fma_f64 v[42:43], v[112:113], v[208:209], v[42:43]
	v_fma_f64 v[12:13], v[16:17], s[12:13], v[14:15]
	v_add_f64 v[14:15], v[18:19], v[28:29]
	v_fma_f64 v[16:17], v[20:21], -0.5, v[50:51]
	v_add_f64 v[18:19], v[22:23], -v[34:35]
	v_fma_f64 v[20:21], v[74:75], s[2:3], v[68:69]
	v_add_f64 v[22:23], v[70:71], v[72:73]
	v_mul_f64 v[38:39], v[118:119], v[202:203]
	v_fma_f64 v[68:69], v[8:9], s[14:15], v[10:11]
	v_fma_f64 v[6:7], v[74:75], s[12:13], v[6:7]
	v_add_f64 v[10:11], v[24:25], v[36:37]
	v_fma_f64 v[40:41], v[116:117], v[202:203], -v[40:41]
	v_fma_f64 v[72:73], v[8:9], s[14:15], v[12:13]
	v_add_f64 v[8:9], v[14:15], v[32:33]
	v_fma_f64 v[12:13], v[18:19], s[4:5], v[16:17]
	v_add_f64 v[14:15], v[26:27], -v[30:31]
	v_fma_f64 v[76:77], v[22:23], s[14:15], v[20:21]
	v_add_f64 v[20:21], v[42:43], v[90:91]
	v_fma_f64 v[38:39], v[116:117], v[200:201], v[38:39]
	v_add_f64 v[26:27], v[24:25], -v[28:29]
	v_add_f64 v[30:31], v[36:37], -v[32:33]
	v_fma_f64 v[80:81], v[22:23], s[14:15], v[6:7]
	v_fma_f64 v[6:7], v[10:11], -0.5, v[50:51]
	v_add_f64 v[50:51], v[8:9], v[36:37]
	v_fma_f64 v[8:9], v[14:15], s[12:13], v[12:13]
	v_fma_f64 v[12:13], v[20:21], -0.5, v[192:193]
	v_add_f64 v[20:21], v[40:41], -v[98:99]
	v_add_f64 v[10:11], v[192:193], v[38:39]
	v_add_f64 v[22:23], v[26:27], v[30:31]
	v_add_f64 v[24:25], v[28:29], -v[24:25]
	v_fma_f64 v[26:27], v[14:15], s[0:1], v[6:7]
	v_add_f64 v[28:29], v[32:33], -v[36:37]
	v_fma_f64 v[6:7], v[14:15], s[4:5], v[6:7]
	v_fma_f64 v[16:17], v[18:19], s[0:1], v[16:17]
	;; [unrolled: 1-line block ×3, first 2 shown]
	v_add_f64 v[32:33], v[86:87], -v[92:93]
	v_add_f64 v[34:35], v[38:39], -v[42:43]
	;; [unrolled: 1-line block ×3, first 2 shown]
	v_add_f64 v[10:11], v[10:11], v[42:43]
	v_add_f64 v[24:25], v[24:25], v[28:29]
	v_fma_f64 v[6:7], v[18:19], s[2:3], v[6:7]
	v_fma_f64 v[14:15], v[14:15], s[2:3], v[16:17]
	v_add_f64 v[16:17], v[38:39], v[94:95]
	v_fma_f64 v[26:27], v[18:19], s[12:13], v[26:27]
	v_fma_f64 v[18:19], v[32:33], s[2:3], v[30:31]
	v_add_f64 v[28:29], v[34:35], v[36:37]
	v_add_f64 v[10:11], v[10:11], v[90:91]
	v_fma_f64 v[70:71], v[22:23], s[14:15], v[8:9]
	v_fma_f64 v[82:83], v[24:25], s[14:15], v[6:7]
	v_add_f64 v[6:7], v[86:87], v[92:93]
	v_fma_f64 v[8:9], v[16:17], -0.5, v[192:193]
	v_add_f64 v[16:17], v[40:41], v[98:99]
	v_fma_f64 v[74:75], v[22:23], s[14:15], v[14:15]
	v_fma_f64 v[88:89], v[28:29], s[14:15], v[18:19]
	v_add_f64 v[14:15], v[42:43], -v[38:39]
	v_add_f64 v[18:19], v[90:91], -v[94:95]
	v_add_f64 v[22:23], v[194:195], v[40:41]
	v_fma_f64 v[78:79], v[24:25], s[14:15], v[26:27]
	v_add_f64 v[84:85], v[10:11], v[94:95]
	v_fma_f64 v[10:11], v[20:21], s[4:5], v[12:13]
	v_fma_f64 v[6:7], v[6:7], -0.5, v[194:195]
	v_add_f64 v[24:25], v[38:39], -v[94:95]
	v_add_f64 v[26:27], v[42:43], -v[90:91]
	v_fma_f64 v[16:17], v[16:17], -0.5, v[194:195]
	v_add_f64 v[14:15], v[14:15], v[18:19]
	v_add_f64 v[18:19], v[22:23], v[86:87]
	v_fma_f64 v[12:13], v[32:33], s[4:5], v[8:9]
	v_fma_f64 v[10:11], v[32:33], s[12:13], v[10:11]
	;; [unrolled: 1-line block ×4, first 2 shown]
	v_add_f64 v[30:31], v[40:41], -v[86:87]
	v_add_f64 v[32:33], v[98:99], -v[92:93]
	v_fma_f64 v[6:7], v[24:25], s[0:1], v[6:7]
	v_fma_f64 v[34:35], v[26:27], s[0:1], v[16:17]
	v_add_f64 v[36:37], v[86:87], -v[40:41]
	v_add_f64 v[38:39], v[92:93], -v[98:99]
	v_fma_f64 v[16:17], v[26:27], s[4:5], v[16:17]
	v_add_f64 v[18:19], v[18:19], v[92:93]
	v_fma_f64 v[12:13], v[20:21], s[2:3], v[12:13]
	v_fma_f64 v[8:9], v[20:21], s[12:13], v[8:9]
	;; [unrolled: 1-line block ×3, first 2 shown]
	v_add_f64 v[22:23], v[30:31], v[32:33]
	v_fma_f64 v[6:7], v[26:27], s[2:3], v[6:7]
	v_fma_f64 v[26:27], v[24:25], s[12:13], v[34:35]
	v_add_f64 v[30:31], v[36:37], v[38:39]
	v_fma_f64 v[16:17], v[24:25], s[2:3], v[16:17]
	v_add_f64 v[86:87], v[18:19], v[98:99]
	v_fma_f64 v[96:97], v[14:15], s[14:15], v[12:13]
	v_fma_f64 v[92:93], v[28:29], s[14:15], v[10:11]
	;; [unrolled: 1-line block ×7, first 2 shown]
	s_waitcnt vmcnt(0)
	ds_write_b128 v5, v[48:51]
	ds_write_b128 v5, v[68:71] offset:176
	ds_write_b128 v5, v[76:79] offset:352
	;; [unrolled: 1-line block ×4, first 2 shown]
	ds_write_b128 v2, v[84:87]
	ds_write_b128 v2, v[88:91] offset:176
	ds_write_b128 v2, v[96:99] offset:352
	ds_write_b128 v2, v[100:103] offset:528
	ds_write_b128 v2, v[92:95] offset:704
	s_waitcnt lgkmcnt(0)
	; wave barrier
	s_waitcnt lgkmcnt(0)
	ds_read_b128 v[44:47], v4 offset:2640
	ds_read_b128 v[48:51], v4
	ds_read_b128 v[52:55], v4 offset:880
	ds_read_b128 v[56:59], v4 offset:5280
	;; [unrolled: 1-line block ×10, first 2 shown]
	s_waitcnt lgkmcnt(8)
	v_mul_f64 v[9:10], v[130:131], v[58:59]
	v_mul_f64 v[5:6], v[134:135], v[46:47]
	v_mul_f64 v[7:8], v[134:135], v[44:45]
	s_waitcnt lgkmcnt(1)
	v_mul_f64 v[13:14], v[126:127], v[86:87]
	v_mul_f64 v[17:18], v[122:123], v[66:67]
	;; [unrolled: 1-line block ×5, first 2 shown]
	v_fma_f64 v[9:10], v[128:129], v[56:57], v[9:10]
	v_fma_f64 v[5:6], v[132:133], v[44:45], v[5:6]
	v_fma_f64 v[7:8], v[132:133], v[46:47], -v[7:8]
	v_fma_f64 v[13:14], v[124:125], v[84:85], v[13:14]
	v_mul_f64 v[25:26], v[130:131], v[62:63]
	v_mul_f64 v[27:28], v[130:131], v[60:61]
	v_fma_f64 v[17:18], v[120:121], v[64:65], v[17:18]
	v_fma_f64 v[19:20], v[120:121], v[66:67], -v[19:20]
	v_mul_f64 v[33:34], v[122:123], v[70:71]
	ds_read_b128 v[92:95], v4 offset:8800
	ds_read_b128 v[96:99], v4 offset:9680
	;; [unrolled: 1-line block ×3, first 2 shown]
	v_fma_f64 v[11:12], v[128:129], v[58:59], -v[11:12]
	v_add_f64 v[43:44], v[9:10], v[13:14]
	v_mul_f64 v[21:22], v[134:135], v[78:79]
	v_fma_f64 v[15:16], v[124:125], v[86:87], -v[15:16]
	v_fma_f64 v[25:26], v[128:129], v[60:61], v[25:26]
	s_waitcnt lgkmcnt(2)
	v_mul_f64 v[29:30], v[126:127], v[94:95]
	v_fma_f64 v[27:28], v[128:129], v[62:63], -v[27:28]
	v_mul_f64 v[31:32], v[126:127], v[92:93]
	v_mul_f64 v[35:36], v[122:123], v[68:69]
	v_fma_f64 v[33:34], v[120:121], v[68:69], v[33:34]
	v_fma_f64 v[43:44], v[43:44], -0.5, v[48:49]
	v_add_f64 v[56:57], v[7:8], -v[19:20]
	s_waitcnt lgkmcnt(1)
	v_mul_f64 v[60:61], v[142:143], v[98:99]
	v_mul_f64 v[62:63], v[142:143], v[96:97]
	s_waitcnt lgkmcnt(0)
	v_mul_f64 v[64:65], v[138:139], v[102:103]
	v_add_f64 v[68:69], v[5:6], v[17:18]
	v_mul_f64 v[23:24], v[134:135], v[76:77]
	v_fma_f64 v[21:22], v[132:133], v[76:77], v[21:22]
	v_mul_f64 v[37:38], v[150:151], v[82:83]
	v_fma_f64 v[29:30], v[124:125], v[92:93], v[29:30]
	v_fma_f64 v[31:32], v[124:125], v[94:95], -v[31:32]
	v_fma_f64 v[35:36], v[120:121], v[70:71], -v[35:36]
	v_add_f64 v[45:46], v[48:49], v[5:6]
	v_mul_f64 v[58:59], v[146:147], v[88:89]
	v_mul_f64 v[66:67], v[138:139], v[100:101]
	v_fma_f64 v[70:71], v[56:57], s[0:1], v[43:44]
	v_add_f64 v[76:77], v[11:12], -v[15:16]
	v_fma_f64 v[92:93], v[140:141], v[96:97], v[60:61]
	v_fma_f64 v[94:95], v[140:141], v[98:99], -v[62:63]
	v_fma_f64 v[96:97], v[136:137], v[100:101], v[64:65]
	v_fma_f64 v[47:48], v[68:69], -0.5, v[48:49]
	v_add_f64 v[62:63], v[50:51], v[7:8]
	v_add_f64 v[64:65], v[11:12], v[15:16]
	v_fma_f64 v[43:44], v[56:57], s[4:5], v[43:44]
	v_fma_f64 v[23:24], v[132:133], v[78:79], -v[23:24]
	v_mul_f64 v[39:40], v[150:151], v[80:81]
	v_mul_f64 v[41:42], v[146:147], v[90:91]
	v_fma_f64 v[37:38], v[148:149], v[80:81], v[37:38]
	v_add_f64 v[45:46], v[45:46], v[9:10]
	v_fma_f64 v[90:91], v[144:145], v[90:91], -v[58:59]
	v_fma_f64 v[98:99], v[136:137], v[102:103], -v[66:67]
	v_fma_f64 v[58:59], v[76:77], s[2:3], v[70:71]
	v_add_f64 v[60:61], v[5:6], -v[9:10]
	v_add_f64 v[66:67], v[17:18], -v[13:14]
	v_fma_f64 v[68:69], v[76:77], s[4:5], v[47:48]
	v_add_f64 v[70:71], v[9:10], -v[5:6]
	v_add_f64 v[78:79], v[13:14], -v[17:18]
	v_fma_f64 v[47:48], v[76:77], s[0:1], v[47:48]
	v_add_f64 v[62:63], v[62:63], v[11:12]
	v_fma_f64 v[80:81], v[64:65], -0.5, v[50:51]
	v_fma_f64 v[64:65], v[76:77], s[12:13], v[43:44]
	v_add_f64 v[76:77], v[7:8], v[19:20]
	v_add_f64 v[45:46], v[45:46], v[13:14]
	v_add_f64 v[5:6], v[5:6], -v[17:18]
	v_add_f64 v[60:61], v[60:61], v[66:67]
	v_fma_f64 v[66:67], v[56:57], s[2:3], v[68:69]
	v_add_f64 v[68:69], v[70:71], v[78:79]
	v_fma_f64 v[70:71], v[56:57], s[12:13], v[47:48]
	v_add_f64 v[62:63], v[62:63], v[15:16]
	v_add_f64 v[9:10], v[9:10], -v[13:14]
	v_fma_f64 v[13:14], v[76:77], -0.5, v[50:51]
	v_fma_f64 v[78:79], v[5:6], s[4:5], v[80:81]
	v_add_f64 v[44:45], v[45:46], v[17:18]
	v_fma_f64 v[48:49], v[60:61], s[14:15], v[58:59]
	v_fma_f64 v[56:57], v[60:61], s[14:15], v[64:65]
	;; [unrolled: 1-line block ×4, first 2 shown]
	v_add_f64 v[46:47], v[62:63], v[19:20]
	v_add_f64 v[50:51], v[7:8], -v[11:12]
	v_add_f64 v[58:59], v[19:20], -v[15:16]
	v_add_f64 v[62:63], v[52:53], v[21:22]
	v_fma_f64 v[66:67], v[5:6], s[0:1], v[80:81]
	v_add_f64 v[68:69], v[25:26], v[29:30]
	v_fma_f64 v[70:71], v[9:10], s[0:1], v[13:14]
	v_add_f64 v[7:8], v[11:12], -v[7:8]
	v_add_f64 v[11:12], v[15:16], -v[19:20]
	v_fma_f64 v[13:14], v[9:10], s[4:5], v[13:14]
	v_fma_f64 v[17:18], v[9:10], s[12:13], v[78:79]
	v_add_f64 v[15:16], v[50:51], v[58:59]
	v_add_f64 v[19:20], v[62:63], v[25:26]
	v_fma_f64 v[9:10], v[9:10], s[2:3], v[66:67]
	v_fma_f64 v[68:69], v[68:69], -0.5, v[52:53]
	v_add_f64 v[78:79], v[23:24], -v[35:36]
	v_fma_f64 v[62:63], v[5:6], s[12:13], v[70:71]
	v_add_f64 v[7:8], v[7:8], v[11:12]
	v_fma_f64 v[5:6], v[5:6], s[2:3], v[13:14]
	v_add_f64 v[11:12], v[21:22], v[33:34]
	v_add_f64 v[13:14], v[19:20], v[29:30]
	v_fma_f64 v[50:51], v[15:16], s[14:15], v[17:18]
	v_fma_f64 v[58:59], v[15:16], s[14:15], v[9:10]
	;; [unrolled: 1-line block ×3, first 2 shown]
	v_add_f64 v[15:16], v[27:28], -v[31:32]
	v_fma_f64 v[62:63], v[7:8], s[14:15], v[62:63]
	v_fma_f64 v[66:67], v[7:8], s[14:15], v[5:6]
	v_fma_f64 v[5:6], v[11:12], -0.5, v[52:53]
	v_add_f64 v[7:8], v[21:22], -v[25:26]
	v_add_f64 v[11:12], v[33:34], -v[29:30]
	v_add_f64 v[52:53], v[13:14], v[33:34]
	v_fma_f64 v[13:14], v[78:79], s[4:5], v[68:69]
	v_fma_f64 v[9:10], v[15:16], s[2:3], v[9:10]
	v_add_f64 v[17:18], v[54:55], v[23:24]
	v_add_f64 v[19:20], v[27:28], v[31:32]
	v_fma_f64 v[68:69], v[15:16], s[4:5], v[5:6]
	v_add_f64 v[70:71], v[25:26], -v[21:22]
	v_add_f64 v[76:77], v[29:30], -v[33:34]
	v_add_f64 v[7:8], v[7:8], v[11:12]
	v_fma_f64 v[5:6], v[15:16], s[0:1], v[5:6]
	v_fma_f64 v[41:42], v[144:145], v[88:89], v[41:42]
	;; [unrolled: 1-line block ×3, first 2 shown]
	v_add_f64 v[13:14], v[17:18], v[27:28]
	v_fma_f64 v[15:16], v[19:20], -0.5, v[54:55]
	v_add_f64 v[17:18], v[21:22], -v[33:34]
	v_fma_f64 v[19:20], v[78:79], s[2:3], v[68:69]
	v_add_f64 v[21:22], v[70:71], v[76:77]
	v_fma_f64 v[68:69], v[7:8], s[14:15], v[9:10]
	v_fma_f64 v[5:6], v[78:79], s[12:13], v[5:6]
	v_add_f64 v[9:10], v[23:24], v[35:36]
	v_fma_f64 v[39:40], v[148:149], v[82:83], -v[39:40]
	v_fma_f64 v[76:77], v[7:8], s[14:15], v[11:12]
	v_add_f64 v[7:8], v[13:14], v[31:32]
	v_fma_f64 v[11:12], v[17:18], s[4:5], v[15:16]
	v_add_f64 v[13:14], v[25:26], -v[29:30]
	v_fma_f64 v[80:81], v[21:22], s[14:15], v[19:20]
	v_add_f64 v[19:20], v[41:42], v[92:93]
	v_add_f64 v[25:26], v[23:24], -v[27:28]
	v_add_f64 v[29:30], v[35:36], -v[31:32]
	v_fma_f64 v[84:85], v[21:22], s[14:15], v[5:6]
	v_fma_f64 v[5:6], v[9:10], -0.5, v[54:55]
	v_add_f64 v[54:55], v[7:8], v[35:36]
	v_fma_f64 v[7:8], v[13:14], s[12:13], v[11:12]
	v_add_f64 v[9:10], v[72:73], v[37:38]
	v_fma_f64 v[11:12], v[19:20], -0.5, v[72:73]
	v_add_f64 v[19:20], v[39:40], -v[98:99]
	v_add_f64 v[21:22], v[25:26], v[29:30]
	v_add_f64 v[23:24], v[27:28], -v[23:24]
	v_fma_f64 v[25:26], v[13:14], s[0:1], v[5:6]
	v_add_f64 v[27:28], v[31:32], -v[35:36]
	v_fma_f64 v[5:6], v[13:14], s[4:5], v[5:6]
	v_fma_f64 v[15:16], v[17:18], s[0:1], v[15:16]
	v_add_f64 v[9:10], v[9:10], v[41:42]
	v_fma_f64 v[29:30], v[19:20], s[0:1], v[11:12]
	v_add_f64 v[31:32], v[90:91], -v[94:95]
	v_add_f64 v[33:34], v[37:38], -v[41:42]
	;; [unrolled: 1-line block ×3, first 2 shown]
	v_add_f64 v[23:24], v[23:24], v[27:28]
	v_fma_f64 v[5:6], v[17:18], s[2:3], v[5:6]
	v_fma_f64 v[13:14], v[13:14], s[2:3], v[15:16]
	v_add_f64 v[15:16], v[37:38], v[96:97]
	v_fma_f64 v[25:26], v[17:18], s[12:13], v[25:26]
	v_add_f64 v[9:10], v[9:10], v[92:93]
	;; [unrolled: 2-line block ×3, first 2 shown]
	v_fma_f64 v[70:71], v[21:22], s[14:15], v[7:8]
	v_fma_f64 v[86:87], v[23:24], s[14:15], v[5:6]
	v_add_f64 v[5:6], v[90:91], v[94:95]
	v_fma_f64 v[7:8], v[15:16], -0.5, v[72:73]
	v_add_f64 v[15:16], v[39:40], v[98:99]
	v_fma_f64 v[78:79], v[21:22], s[14:15], v[13:14]
	v_fma_f64 v[82:83], v[23:24], s[14:15], v[25:26]
	v_add_f64 v[72:73], v[9:10], v[96:97]
	v_fma_f64 v[88:89], v[27:28], s[14:15], v[17:18]
	v_fma_f64 v[9:10], v[19:20], s[4:5], v[11:12]
	v_add_f64 v[13:14], v[41:42], -v[37:38]
	v_add_f64 v[17:18], v[92:93], -v[96:97]
	v_add_f64 v[21:22], v[74:75], v[39:40]
	v_fma_f64 v[5:6], v[5:6], -0.5, v[74:75]
	v_add_f64 v[23:24], v[37:38], -v[96:97]
	v_add_f64 v[25:26], v[41:42], -v[92:93]
	v_fma_f64 v[15:16], v[15:16], -0.5, v[74:75]
	v_fma_f64 v[11:12], v[31:32], s[4:5], v[7:8]
	v_fma_f64 v[9:10], v[31:32], s[12:13], v[9:10]
	v_add_f64 v[13:14], v[13:14], v[17:18]
	v_fma_f64 v[7:8], v[31:32], s[0:1], v[7:8]
	v_add_f64 v[17:18], v[21:22], v[90:91]
	v_fma_f64 v[21:22], v[23:24], s[4:5], v[5:6]
	v_add_f64 v[29:30], v[39:40], -v[90:91]
	v_add_f64 v[31:32], v[98:99], -v[94:95]
	v_fma_f64 v[5:6], v[23:24], s[0:1], v[5:6]
	v_fma_f64 v[33:34], v[25:26], s[0:1], v[15:16]
	v_add_f64 v[35:36], v[90:91], -v[39:40]
	v_add_f64 v[37:38], v[94:95], -v[98:99]
	v_fma_f64 v[15:16], v[25:26], s[4:5], v[15:16]
	v_fma_f64 v[11:12], v[19:20], s[2:3], v[11:12]
	v_fma_f64 v[7:8], v[19:20], s[12:13], v[7:8]
	v_add_f64 v[17:18], v[17:18], v[94:95]
	v_fma_f64 v[19:20], v[25:26], s[12:13], v[21:22]
	v_add_f64 v[21:22], v[29:30], v[31:32]
	v_fma_f64 v[5:6], v[25:26], s[2:3], v[5:6]
	v_fma_f64 v[25:26], v[23:24], s[12:13], v[33:34]
	v_add_f64 v[29:30], v[35:36], v[37:38]
	v_fma_f64 v[15:16], v[23:24], s[2:3], v[15:16]
	;; [unrolled: 3-line block ×3, first 2 shown]
	v_fma_f64 v[90:91], v[21:22], s[14:15], v[19:20]
	v_fma_f64 v[100:101], v[13:14], s[14:15], v[7:8]
	;; [unrolled: 1-line block ×5, first 2 shown]
	s_waitcnt lgkmcnt(0)
	; wave barrier
	ds_write_b128 v4, v[44:47]
	ds_write_b128 v4, v[48:51] offset:880
	ds_write_b128 v4, v[60:63] offset:1760
	;; [unrolled: 1-line block ×14, first 2 shown]
	s_waitcnt lgkmcnt(0)
	; wave barrier
	s_waitcnt lgkmcnt(0)
	ds_read_b128 v[44:47], v4 offset:4400
	ds_read_b128 v[48:51], v4
	ds_read_b128 v[52:55], v4 offset:880
	ds_read_b128 v[56:59], v4 offset:8800
	;; [unrolled: 1-line block ×10, first 2 shown]
	s_waitcnt lgkmcnt(11)
	v_mul_f64 v[2:3], v[154:155], v[46:47]
	s_waitcnt lgkmcnt(8)
	v_mul_f64 v[7:8], v[158:159], v[58:59]
	v_mul_f64 v[5:6], v[154:155], v[44:45]
	;; [unrolled: 1-line block ×3, first 2 shown]
	s_waitcnt lgkmcnt(6)
	v_mul_f64 v[11:12], v[166:167], v[66:67]
	v_mul_f64 v[15:16], v[162:163], v[62:63]
	;; [unrolled: 1-line block ×4, first 2 shown]
	v_fma_f64 v[2:3], v[152:153], v[44:45], v[2:3]
	v_fma_f64 v[7:8], v[156:157], v[56:57], v[7:8]
	v_fma_f64 v[5:6], v[152:153], v[46:47], -v[5:6]
	v_fma_f64 v[9:10], v[156:157], v[58:59], -v[9:10]
	v_fma_f64 v[11:12], v[164:165], v[64:65], v[11:12]
	v_fma_f64 v[15:16], v[160:161], v[60:61], v[15:16]
	ds_read_b128 v[92:95], v4 offset:7040
	ds_read_b128 v[96:99], v4 offset:7920
	;; [unrolled: 1-line block ×3, first 2 shown]
	v_fma_f64 v[13:14], v[164:165], v[66:67], -v[13:14]
	v_add_f64 v[37:38], v[2:3], v[7:8]
	s_waitcnt lgkmcnt(8)
	v_mul_f64 v[19:20], v[170:171], v[70:71]
	v_mul_f64 v[21:22], v[170:171], v[68:69]
	s_waitcnt lgkmcnt(5)
	v_mul_f64 v[23:24], v[174:175], v[82:83]
	v_mul_f64 v[25:26], v[174:175], v[80:81]
	v_fma_f64 v[17:18], v[160:161], v[62:63], -v[17:18]
	s_waitcnt lgkmcnt(1)
	v_mul_f64 v[39:40], v[186:187], v[96:97]
	s_waitcnt lgkmcnt(0)
	v_mul_f64 v[43:44], v[190:191], v[100:101]
	v_add_f64 v[45:46], v[48:49], v[2:3]
	v_fma_f64 v[37:38], v[37:38], -0.5, v[48:49]
	v_add_f64 v[56:57], v[5:6], -v[9:10]
	v_add_f64 v[58:59], v[5:6], v[9:10]
	v_add_f64 v[5:6], v[50:51], v[5:6]
	;; [unrolled: 1-line block ×3, first 2 shown]
	s_mov_b32 s0, 0xe8584caa
	s_mov_b32 s1, 0xbfebb67a
	;; [unrolled: 1-line block ×4, first 2 shown]
	v_mul_f64 v[27:28], v[182:183], v[94:95]
	v_fma_f64 v[19:20], v[168:169], v[68:69], v[19:20]
	v_fma_f64 v[21:22], v[168:169], v[70:71], -v[21:22]
	v_mul_f64 v[31:32], v[178:179], v[86:87]
	v_fma_f64 v[23:24], v[172:173], v[80:81], v[23:24]
	v_fma_f64 v[25:26], v[172:173], v[82:83], -v[25:26]
	v_mul_f64 v[35:36], v[186:187], v[98:99]
	v_fma_f64 v[39:40], v[184:185], v[98:99], -v[39:40]
	v_fma_f64 v[98:99], v[188:189], v[102:103], -v[43:44]
	v_add_f64 v[44:45], v[45:46], v[7:8]
	v_fma_f64 v[48:49], v[56:57], s[0:1], v[37:38]
	v_fma_f64 v[58:59], v[58:59], -0.5, v[50:51]
	v_add_f64 v[2:3], v[2:3], -v[7:8]
	v_fma_f64 v[56:57], v[56:57], s[2:3], v[37:38]
	v_add_f64 v[7:8], v[52:53], v[11:12]
	v_add_f64 v[46:47], v[5:6], v[9:10]
	;; [unrolled: 1-line block ×3, first 2 shown]
	v_fma_f64 v[9:10], v[60:61], -0.5, v[52:53]
	v_add_f64 v[37:38], v[13:14], -v[17:18]
	v_mul_f64 v[29:30], v[182:183], v[92:93]
	v_fma_f64 v[27:28], v[180:181], v[92:93], v[27:28]
	v_mul_f64 v[33:34], v[178:179], v[84:85]
	v_fma_f64 v[31:32], v[176:177], v[84:85], v[31:32]
	;; [unrolled: 2-line block ×3, first 2 shown]
	v_add_f64 v[13:14], v[54:55], v[13:14]
	v_fma_f64 v[58:59], v[2:3], s[0:1], v[58:59]
	v_add_f64 v[52:53], v[7:8], v[15:16]
	v_add_f64 v[2:3], v[19:20], v[23:24]
	v_fma_f64 v[5:6], v[5:6], -0.5, v[54:55]
	v_add_f64 v[7:8], v[11:12], -v[15:16]
	v_fma_f64 v[60:61], v[37:38], s[0:1], v[9:10]
	v_fma_f64 v[64:65], v[37:38], s[2:3], v[9:10]
	v_add_f64 v[9:10], v[21:22], v[25:26]
	v_fma_f64 v[29:30], v[180:181], v[94:95], -v[29:30]
	v_fma_f64 v[33:34], v[176:177], v[86:87], -v[33:34]
	v_fma_f64 v[35:36], v[184:185], v[96:97], v[35:36]
	v_fma_f64 v[41:42], v[188:189], v[100:101], v[41:42]
	v_add_f64 v[54:55], v[13:14], v[17:18]
	v_add_f64 v[11:12], v[72:73], v[19:20]
	v_fma_f64 v[2:3], v[2:3], -0.5, v[72:73]
	v_add_f64 v[13:14], v[21:22], -v[25:26]
	v_fma_f64 v[62:63], v[7:8], s[2:3], v[5:6]
	v_add_f64 v[15:16], v[27:28], v[31:32]
	v_fma_f64 v[66:67], v[7:8], s[0:1], v[5:6]
	v_add_f64 v[5:6], v[74:75], v[21:22]
	v_fma_f64 v[7:8], v[9:10], -0.5, v[74:75]
	v_add_f64 v[9:10], v[19:20], -v[23:24]
	v_add_f64 v[68:69], v[11:12], v[23:24]
	v_fma_f64 v[72:73], v[13:14], s[0:1], v[2:3]
	v_add_f64 v[11:12], v[76:77], v[27:28]
	v_fma_f64 v[15:16], v[15:16], -0.5, v[76:77]
	v_add_f64 v[17:18], v[29:30], -v[33:34]
	v_fma_f64 v[80:81], v[13:14], s[2:3], v[2:3]
	v_add_f64 v[70:71], v[5:6], v[25:26]
	v_fma_f64 v[74:75], v[9:10], s[2:3], v[7:8]
	v_add_f64 v[2:3], v[29:30], v[33:34]
	v_fma_f64 v[82:83], v[9:10], s[0:1], v[7:8]
	v_add_f64 v[5:6], v[35:36], v[41:42]
	v_add_f64 v[7:8], v[39:40], v[98:99]
	v_add_f64 v[76:77], v[11:12], v[31:32]
	v_fma_f64 v[84:85], v[17:18], s[0:1], v[15:16]
	v_fma_f64 v[92:93], v[17:18], s[2:3], v[15:16]
	v_add_f64 v[9:10], v[78:79], v[29:30]
	v_fma_f64 v[2:3], v[2:3], -0.5, v[78:79]
	v_add_f64 v[11:12], v[27:28], -v[31:32]
	v_add_f64 v[13:14], v[88:89], v[35:36]
	v_fma_f64 v[5:6], v[5:6], -0.5, v[88:89]
	v_add_f64 v[15:16], v[39:40], -v[98:99]
	;; [unrolled: 3-line block ×3, first 2 shown]
	v_add_f64 v[78:79], v[9:10], v[33:34]
	v_fma_f64 v[86:87], v[11:12], s[2:3], v[2:3]
	v_fma_f64 v[94:95], v[11:12], s[0:1], v[2:3]
	v_add_f64 v[88:89], v[13:14], v[41:42]
	v_fma_f64 v[96:97], v[15:16], s[0:1], v[5:6]
	v_fma_f64 v[100:101], v[15:16], s[2:3], v[5:6]
	;; [unrolled: 3-line block ×3, first 2 shown]
	ds_write_b128 v4, v[44:47]
	ds_write_b128 v4, v[48:51] offset:4400
	ds_write_b128 v4, v[56:59] offset:8800
	;; [unrolled: 1-line block ×14, first 2 shown]
	s_waitcnt lgkmcnt(0)
	; wave barrier
	s_waitcnt lgkmcnt(0)
	ds_read_b128 v[44:47], v4
	buffer_load_dword v2, off, s[44:47], 0  ; 4-byte Folded Reload
	buffer_load_dword v3, off, s[44:47], 0 offset:4 ; 4-byte Folded Reload
	ds_read_b128 v[48:51], v4 offset:1200
	buffer_load_dword v13, off, s[44:47], 0 offset:172 ; 4-byte Folded Reload
	buffer_load_dword v14, off, s[44:47], 0 offset:176 ; 4-byte Folded Reload
	;; [unrolled: 1-line block ×5, first 2 shown]
	s_mov_b32 s2, 0x3dc013dc
	s_mov_b32 s3, 0x3f53dc01
	s_waitcnt vmcnt(6)
	v_mov_b32_e32 v9, v2
	s_waitcnt vmcnt(5)
	v_mad_u64_u32 v[2:3], s[0:1], s10, v9, 0
	s_waitcnt vmcnt(1) lgkmcnt(1)
	v_mul_f64 v[5:6], v[15:16], v[46:47]
	v_mul_f64 v[7:8], v[15:16], v[44:45]
	v_mad_u64_u32 v[9:10], s[0:1], s11, v9, v[3:4]
	s_waitcnt vmcnt(0)
	v_mad_u64_u32 v[10:11], s[0:1], s8, v12, 0
	v_mov_b32_e32 v3, v9
	v_lshlrev_b64 v[2:3], 4, v[2:3]
	v_fma_f64 v[5:6], v[13:14], v[44:45], v[5:6]
	v_fma_f64 v[7:8], v[13:14], v[46:47], -v[7:8]
	buffer_load_dword v13, off, s[44:47], 0 offset:108 ; 4-byte Folded Reload
	buffer_load_dword v14, off, s[44:47], 0 offset:112 ; 4-byte Folded Reload
	;; [unrolled: 1-line block ×4, first 2 shown]
	v_mov_b32_e32 v9, v11
	v_mad_u64_u32 v[11:12], s[0:1], s9, v12, v[9:10]
	v_mov_b32_e32 v9, s7
	v_add_co_u32_e64 v12, s[0:1], s6, v2
	v_mul_f64 v[40:41], v[5:6], s[2:3]
	v_mul_f64 v[42:43], v[7:8], s[2:3]
	v_addc_co_u32_e64 v9, s[0:1], v9, v3, s[0:1]
	v_lshlrev_b64 v[2:3], 4, v[10:11]
	ds_read_b128 v[24:27], v4 offset:2400
	ds_read_b128 v[44:47], v4 offset:3600
	v_add_co_u32_e64 v2, s[0:1], v12, v2
	v_addc_co_u32_e64 v3, s[0:1], v9, v3, s[0:1]
	global_store_dwordx4 v[2:3], v[40:43], off
	buffer_load_dword v9, off, s[44:47], 0 offset:124 ; 4-byte Folded Reload
	buffer_load_dword v10, off, s[44:47], 0 offset:128 ; 4-byte Folded Reload
	;; [unrolled: 1-line block ×4, first 2 shown]
	s_mul_i32 s0, s9, 0x4b
	s_mul_hi_u32 s1, s8, 0x4b
	s_add_i32 s1, s1, s0
	s_mul_i32 s0, s8, 0x4b
	s_lshl_b64 s[4:5], s[0:1], 4
	v_mov_b32_e32 v32, s5
	v_add_co_u32_e64 v2, s[0:1], s4, v2
	v_addc_co_u32_e64 v3, s[0:1], v3, v32, s[0:1]
	s_waitcnt vmcnt(5) lgkmcnt(2)
	v_mul_f64 v[5:6], v[15:16], v[50:51]
	v_mul_f64 v[7:8], v[15:16], v[48:49]
	v_fma_f64 v[5:6], v[13:14], v[48:49], v[5:6]
	v_fma_f64 v[7:8], v[13:14], v[50:51], -v[7:8]
	buffer_load_dword v13, off, s[44:47], 0 offset:44 ; 4-byte Folded Reload
	buffer_load_dword v14, off, s[44:47], 0 offset:48 ; 4-byte Folded Reload
	;; [unrolled: 1-line block ×4, first 2 shown]
	ds_read_b128 v[28:31], v4 offset:4800
	v_mul_f64 v[40:41], v[5:6], s[2:3]
	v_mul_f64 v[42:43], v[7:8], s[2:3]
	s_waitcnt vmcnt(4) lgkmcnt(2)
	v_mul_f64 v[5:6], v[11:12], v[26:27]
	v_mul_f64 v[7:8], v[11:12], v[24:25]
	global_store_dwordx4 v[2:3], v[40:43], off
	v_add_co_u32_e64 v2, s[0:1], s4, v2
	v_fma_f64 v[5:6], v[9:10], v[24:25], v[5:6]
	v_fma_f64 v[7:8], v[9:10], v[26:27], -v[7:8]
	v_addc_co_u32_e64 v3, s[0:1], v3, v32, s[0:1]
	v_mul_f64 v[24:25], v[5:6], s[2:3]
	v_mul_f64 v[26:27], v[7:8], s[2:3]
	ds_read_b128 v[5:8], v4 offset:6000
	buffer_load_dword v17, off, s[44:47], 0 offset:156 ; 4-byte Folded Reload
	buffer_load_dword v18, off, s[44:47], 0 offset:160 ; 4-byte Folded Reload
	;; [unrolled: 1-line block ×4, first 2 shown]
	s_waitcnt vmcnt(5) lgkmcnt(2)
	v_mul_f64 v[9:10], v[15:16], v[46:47]
	v_mul_f64 v[11:12], v[15:16], v[44:45]
	global_store_dwordx4 v[2:3], v[24:27], off
	v_add_co_u32_e64 v2, s[0:1], s4, v2
	v_addc_co_u32_e64 v3, s[0:1], v3, v32, s[0:1]
	v_fma_f64 v[9:10], v[13:14], v[44:45], v[9:10]
	v_fma_f64 v[11:12], v[13:14], v[46:47], -v[11:12]
	v_mul_f64 v[24:25], v[9:10], s[2:3]
	v_mul_f64 v[26:27], v[11:12], s[2:3]
	s_waitcnt vmcnt(1) lgkmcnt(1)
	v_mul_f64 v[13:14], v[19:20], v[30:31]
	v_mul_f64 v[15:16], v[19:20], v[28:29]
	v_fma_f64 v[9:10], v[17:18], v[28:29], v[13:14]
	v_fma_f64 v[11:12], v[17:18], v[30:31], -v[15:16]
	buffer_load_dword v17, off, s[44:47], 0 offset:60 ; 4-byte Folded Reload
	buffer_load_dword v18, off, s[44:47], 0 offset:64 ; 4-byte Folded Reload
	;; [unrolled: 1-line block ×4, first 2 shown]
	ds_read_b128 v[28:31], v4 offset:7200
	global_store_dwordx4 v[2:3], v[24:27], off
	v_add_co_u32_e64 v2, s[0:1], s4, v2
	v_addc_co_u32_e64 v3, s[0:1], v3, v32, s[0:1]
	v_mul_f64 v[24:25], v[9:10], s[2:3]
	v_mul_f64 v[26:27], v[11:12], s[2:3]
	s_waitcnt vmcnt(1) lgkmcnt(1)
	v_mul_f64 v[13:14], v[19:20], v[7:8]
	v_mul_f64 v[15:16], v[19:20], v[5:6]
	v_fma_f64 v[9:10], v[17:18], v[5:6], v[13:14]
	v_fma_f64 v[11:12], v[17:18], v[7:8], -v[15:16]
	ds_read_b128 v[5:8], v4 offset:8400
	buffer_load_dword v17, off, s[44:47], 0 offset:28 ; 4-byte Folded Reload
	buffer_load_dword v18, off, s[44:47], 0 offset:32 ; 4-byte Folded Reload
	;; [unrolled: 1-line block ×4, first 2 shown]
	v_mul_f64 v[9:10], v[9:10], s[2:3]
	global_store_dwordx4 v[2:3], v[24:27], off
	buffer_load_dword v21, off, s[44:47], 0 offset:140 ; 4-byte Folded Reload
	s_nop 0
	buffer_load_dword v22, off, s[44:47], 0 offset:144 ; 4-byte Folded Reload
	buffer_load_dword v23, off, s[44:47], 0 offset:148 ; 4-byte Folded Reload
	;; [unrolled: 1-line block ×3, first 2 shown]
	v_mul_f64 v[11:12], v[11:12], s[2:3]
	v_add_co_u32_e64 v2, s[0:1], s4, v2
	v_addc_co_u32_e64 v3, s[0:1], v3, v32, s[0:1]
	global_store_dwordx4 v[2:3], v[9:12], off
	v_add_co_u32_e64 v2, s[0:1], s4, v2
	v_addc_co_u32_e64 v3, s[0:1], v3, v32, s[0:1]
	s_waitcnt vmcnt(6) lgkmcnt(1)
	v_mul_f64 v[13:14], v[19:20], v[30:31]
	v_mul_f64 v[15:16], v[19:20], v[28:29]
	s_waitcnt vmcnt(1) lgkmcnt(0)
	v_mul_f64 v[19:20], v[23:24], v[5:6]
	v_fma_f64 v[13:14], v[17:18], v[28:29], v[13:14]
	v_fma_f64 v[15:16], v[17:18], v[30:31], -v[15:16]
	v_mul_f64 v[17:18], v[23:24], v[7:8]
	ds_read_b128 v[24:27], v4 offset:9600
	v_mul_f64 v[9:10], v[13:14], s[2:3]
	v_mul_f64 v[11:12], v[15:16], s[2:3]
	v_fma_f64 v[13:14], v[21:22], v[5:6], v[17:18]
	v_fma_f64 v[15:16], v[21:22], v[7:8], -v[19:20]
	ds_read_b128 v[5:8], v4 offset:10800
	buffer_load_dword v33, off, s[44:47], 0 offset:12 ; 4-byte Folded Reload
	buffer_load_dword v34, off, s[44:47], 0 offset:16 ; 4-byte Folded Reload
	;; [unrolled: 1-line block ×4, first 2 shown]
	ds_read_b128 v[28:31], v4 offset:12000
	global_store_dwordx4 v[2:3], v[9:12], off
	s_nop 0
	v_mul_f64 v[9:10], v[13:14], s[2:3]
	v_mul_f64 v[11:12], v[15:16], s[2:3]
	v_add_co_u32_e64 v2, s[0:1], s4, v2
	v_addc_co_u32_e64 v3, s[0:1], v3, v32, s[0:1]
	s_waitcnt vmcnt(1) lgkmcnt(2)
	v_mul_f64 v[17:18], v[35:36], v[26:27]
	v_mul_f64 v[19:20], v[35:36], v[24:25]
	v_fma_f64 v[13:14], v[33:34], v[24:25], v[17:18]
	v_fma_f64 v[15:16], v[33:34], v[26:27], -v[19:20]
	buffer_load_dword v33, off, s[44:47], 0 offset:76 ; 4-byte Folded Reload
	buffer_load_dword v34, off, s[44:47], 0 offset:80 ; 4-byte Folded Reload
	;; [unrolled: 1-line block ×4, first 2 shown]
	s_waitcnt vmcnt(0) lgkmcnt(1)
	v_mul_f64 v[17:18], v[35:36], v[7:8]
	v_mul_f64 v[19:20], v[35:36], v[5:6]
	buffer_load_dword v35, off, s[44:47], 0 offset:92 ; 4-byte Folded Reload
	buffer_load_dword v36, off, s[44:47], 0 offset:96 ; 4-byte Folded Reload
	;; [unrolled: 1-line block ×4, first 2 shown]
	v_fma_f64 v[5:6], v[33:34], v[5:6], v[17:18]
	v_fma_f64 v[7:8], v[33:34], v[7:8], -v[19:20]
	global_store_dwordx4 v[2:3], v[9:12], off
	v_add_co_u32_e64 v2, s[0:1], s4, v2
	v_mul_f64 v[9:10], v[13:14], s[2:3]
	v_mul_f64 v[11:12], v[15:16], s[2:3]
	v_addc_co_u32_e64 v3, s[0:1], v3, v32, s[0:1]
	v_mul_f64 v[5:6], v[5:6], s[2:3]
	v_mul_f64 v[7:8], v[7:8], s[2:3]
	global_store_dwordx4 v[2:3], v[9:12], off
	v_add_co_u32_e64 v2, s[0:1], s4, v2
	v_addc_co_u32_e64 v3, s[0:1], v3, v32, s[0:1]
	global_store_dwordx4 v[2:3], v[5:8], off
	v_add_co_u32_e64 v2, s[0:1], s4, v2
	v_addc_co_u32_e64 v3, s[0:1], v3, v32, s[0:1]
	s_waitcnt vmcnt(3) lgkmcnt(0)
	v_mul_f64 v[21:22], v[37:38], v[30:31]
	v_mul_f64 v[23:24], v[37:38], v[28:29]
	v_fma_f64 v[13:14], v[35:36], v[28:29], v[21:22]
	v_fma_f64 v[15:16], v[35:36], v[30:31], -v[23:24]
	v_mul_f64 v[9:10], v[13:14], s[2:3]
	v_mul_f64 v[11:12], v[15:16], s[2:3]
	global_store_dwordx4 v[2:3], v[9:12], off
	s_and_b64 exec, exec, vcc
	s_cbranch_execz .LBB0_15
; %bb.14:
	global_load_dwordx4 v[5:8], v[0:1], off offset:880
	ds_read_b128 v[9:12], v4 offset:880
	ds_read_b128 v[13:16], v4 offset:2080
	v_mov_b32_e32 v21, s5
	s_waitcnt vmcnt(0) lgkmcnt(1)
	v_mul_f64 v[17:18], v[11:12], v[7:8]
	v_mul_f64 v[7:8], v[9:10], v[7:8]
	v_fma_f64 v[9:10], v[9:10], v[5:6], v[17:18]
	v_fma_f64 v[7:8], v[5:6], v[11:12], -v[7:8]
	v_mul_f64 v[5:6], v[9:10], s[2:3]
	v_mul_f64 v[7:8], v[7:8], s[2:3]
	v_mov_b32_e32 v9, 0xffffd490
	v_mad_u64_u32 v[2:3], s[0:1], s8, v9, v[2:3]
	s_mul_i32 s0, s9, 0xffffd490
	s_sub_i32 s0, s0, s8
	v_add_u32_e32 v3, s0, v3
	s_movk_i32 s0, 0x1000
	global_store_dwordx4 v[2:3], v[5:8], off
	global_load_dwordx4 v[5:8], v[0:1], off offset:2080
	v_add_co_u32_e32 v2, vcc, s4, v2
	v_addc_co_u32_e32 v3, vcc, v3, v21, vcc
	s_waitcnt vmcnt(0) lgkmcnt(0)
	v_mul_f64 v[9:10], v[15:16], v[7:8]
	v_mul_f64 v[7:8], v[13:14], v[7:8]
	v_fma_f64 v[9:10], v[13:14], v[5:6], v[9:10]
	v_fma_f64 v[7:8], v[5:6], v[15:16], -v[7:8]
	v_mul_f64 v[5:6], v[9:10], s[2:3]
	v_mul_f64 v[7:8], v[7:8], s[2:3]
	global_store_dwordx4 v[2:3], v[5:8], off
	global_load_dwordx4 v[5:8], v[0:1], off offset:3280
	ds_read_b128 v[9:12], v4 offset:3280
	ds_read_b128 v[13:16], v4 offset:4480
	s_waitcnt vmcnt(0) lgkmcnt(1)
	v_mul_f64 v[17:18], v[11:12], v[7:8]
	v_mul_f64 v[7:8], v[9:10], v[7:8]
	v_fma_f64 v[9:10], v[9:10], v[5:6], v[17:18]
	v_fma_f64 v[7:8], v[5:6], v[11:12], -v[7:8]
	v_add_co_u32_e32 v17, vcc, s0, v0
	v_addc_co_u32_e32 v18, vcc, 0, v1, vcc
	v_add_co_u32_e32 v2, vcc, s4, v2
	v_mul_f64 v[5:6], v[9:10], s[2:3]
	v_mul_f64 v[7:8], v[7:8], s[2:3]
	v_addc_co_u32_e32 v3, vcc, v3, v21, vcc
	s_movk_i32 s0, 0x2000
	global_store_dwordx4 v[2:3], v[5:8], off
	global_load_dwordx4 v[5:8], v[17:18], off offset:384
	v_add_co_u32_e32 v2, vcc, s4, v2
	v_addc_co_u32_e32 v3, vcc, v3, v21, vcc
	s_waitcnt vmcnt(0) lgkmcnt(0)
	v_mul_f64 v[9:10], v[15:16], v[7:8]
	v_mul_f64 v[7:8], v[13:14], v[7:8]
	v_fma_f64 v[9:10], v[13:14], v[5:6], v[9:10]
	v_fma_f64 v[7:8], v[5:6], v[15:16], -v[7:8]
	v_mul_f64 v[5:6], v[9:10], s[2:3]
	v_mul_f64 v[7:8], v[7:8], s[2:3]
	global_store_dwordx4 v[2:3], v[5:8], off
	global_load_dwordx4 v[5:8], v[17:18], off offset:1584
	ds_read_b128 v[9:12], v4 offset:5680
	ds_read_b128 v[13:16], v4 offset:6880
	v_add_co_u32_e32 v2, vcc, s4, v2
	v_addc_co_u32_e32 v3, vcc, v3, v21, vcc
	s_waitcnt vmcnt(0) lgkmcnt(1)
	v_mul_f64 v[19:20], v[11:12], v[7:8]
	v_mul_f64 v[7:8], v[9:10], v[7:8]
	v_fma_f64 v[9:10], v[9:10], v[5:6], v[19:20]
	v_fma_f64 v[7:8], v[5:6], v[11:12], -v[7:8]
	v_mul_f64 v[5:6], v[9:10], s[2:3]
	v_mul_f64 v[7:8], v[7:8], s[2:3]
	global_store_dwordx4 v[2:3], v[5:8], off
	global_load_dwordx4 v[5:8], v[17:18], off offset:2784
	v_add_co_u32_e32 v2, vcc, s4, v2
	v_addc_co_u32_e32 v3, vcc, v3, v21, vcc
	s_waitcnt vmcnt(0) lgkmcnt(0)
	v_mul_f64 v[9:10], v[15:16], v[7:8]
	v_mul_f64 v[7:8], v[13:14], v[7:8]
	v_fma_f64 v[9:10], v[13:14], v[5:6], v[9:10]
	v_fma_f64 v[7:8], v[5:6], v[15:16], -v[7:8]
	v_mul_f64 v[5:6], v[9:10], s[2:3]
	v_mul_f64 v[7:8], v[7:8], s[2:3]
	global_store_dwordx4 v[2:3], v[5:8], off
	global_load_dwordx4 v[5:8], v[17:18], off offset:3984
	ds_read_b128 v[9:12], v4 offset:8080
	ds_read_b128 v[13:16], v4 offset:9280
	s_waitcnt vmcnt(0) lgkmcnt(1)
	v_mul_f64 v[17:18], v[11:12], v[7:8]
	v_mul_f64 v[7:8], v[9:10], v[7:8]
	v_fma_f64 v[9:10], v[9:10], v[5:6], v[17:18]
	v_fma_f64 v[7:8], v[5:6], v[11:12], -v[7:8]
	v_add_co_u32_e32 v17, vcc, s0, v0
	v_addc_co_u32_e32 v18, vcc, 0, v1, vcc
	v_add_co_u32_e32 v2, vcc, s4, v2
	v_mul_f64 v[5:6], v[9:10], s[2:3]
	v_mul_f64 v[7:8], v[7:8], s[2:3]
	v_addc_co_u32_e32 v3, vcc, v3, v21, vcc
	s_movk_i32 s0, 0x3000
	global_store_dwordx4 v[2:3], v[5:8], off
	global_load_dwordx4 v[5:8], v[17:18], off offset:1088
	v_add_co_u32_e32 v2, vcc, s4, v2
	v_addc_co_u32_e32 v3, vcc, v3, v21, vcc
	s_waitcnt vmcnt(0) lgkmcnt(0)
	v_mul_f64 v[9:10], v[15:16], v[7:8]
	v_mul_f64 v[7:8], v[13:14], v[7:8]
	v_fma_f64 v[9:10], v[13:14], v[5:6], v[9:10]
	v_fma_f64 v[7:8], v[5:6], v[15:16], -v[7:8]
	v_mul_f64 v[5:6], v[9:10], s[2:3]
	v_mul_f64 v[7:8], v[7:8], s[2:3]
	global_store_dwordx4 v[2:3], v[5:8], off
	global_load_dwordx4 v[5:8], v[17:18], off offset:2288
	ds_read_b128 v[9:12], v4 offset:10480
	ds_read_b128 v[13:16], v4 offset:11680
	v_add_co_u32_e32 v2, vcc, s4, v2
	v_addc_co_u32_e32 v3, vcc, v3, v21, vcc
	v_add_co_u32_e32 v0, vcc, s0, v0
	v_addc_co_u32_e32 v1, vcc, 0, v1, vcc
	s_waitcnt vmcnt(0) lgkmcnt(1)
	v_mul_f64 v[19:20], v[11:12], v[7:8]
	v_mul_f64 v[7:8], v[9:10], v[7:8]
	v_fma_f64 v[9:10], v[9:10], v[5:6], v[19:20]
	v_fma_f64 v[7:8], v[5:6], v[11:12], -v[7:8]
	v_mul_f64 v[5:6], v[9:10], s[2:3]
	v_mul_f64 v[7:8], v[7:8], s[2:3]
	global_store_dwordx4 v[2:3], v[5:8], off
	global_load_dwordx4 v[5:8], v[17:18], off offset:3488
	s_waitcnt vmcnt(0) lgkmcnt(0)
	v_mul_f64 v[9:10], v[15:16], v[7:8]
	v_mul_f64 v[7:8], v[13:14], v[7:8]
	v_fma_f64 v[9:10], v[13:14], v[5:6], v[9:10]
	v_fma_f64 v[7:8], v[5:6], v[15:16], -v[7:8]
	v_mul_f64 v[5:6], v[9:10], s[2:3]
	v_mul_f64 v[7:8], v[7:8], s[2:3]
	v_add_co_u32_e32 v9, vcc, s4, v2
	v_addc_co_u32_e32 v10, vcc, v3, v21, vcc
	global_store_dwordx4 v[9:10], v[5:8], off
	global_load_dwordx4 v[0:3], v[0:1], off offset:592
	ds_read_b128 v[4:7], v4 offset:12880
	s_waitcnt vmcnt(0) lgkmcnt(0)
	v_mul_f64 v[11:12], v[6:7], v[2:3]
	v_mul_f64 v[2:3], v[4:5], v[2:3]
	v_fma_f64 v[4:5], v[4:5], v[0:1], v[11:12]
	v_fma_f64 v[2:3], v[0:1], v[6:7], -v[2:3]
	v_mul_f64 v[0:1], v[4:5], s[2:3]
	v_mul_f64 v[2:3], v[2:3], s[2:3]
	v_add_co_u32_e32 v4, vcc, s4, v9
	v_addc_co_u32_e32 v5, vcc, v10, v21, vcc
	global_store_dwordx4 v[4:5], v[0:3], off
.LBB0_15:
	s_endpgm
	.section	.rodata,"a",@progbits
	.p2align	6, 0x0
	.amdhsa_kernel bluestein_single_back_len825_dim1_dp_op_CI_CI
		.amdhsa_group_segment_fixed_size 13200
		.amdhsa_private_segment_fixed_size 252
		.amdhsa_kernarg_size 104
		.amdhsa_user_sgpr_count 6
		.amdhsa_user_sgpr_private_segment_buffer 1
		.amdhsa_user_sgpr_dispatch_ptr 0
		.amdhsa_user_sgpr_queue_ptr 0
		.amdhsa_user_sgpr_kernarg_segment_ptr 1
		.amdhsa_user_sgpr_dispatch_id 0
		.amdhsa_user_sgpr_flat_scratch_init 0
		.amdhsa_user_sgpr_private_segment_size 0
		.amdhsa_uses_dynamic_stack 0
		.amdhsa_system_sgpr_private_segment_wavefront_offset 1
		.amdhsa_system_sgpr_workgroup_id_x 1
		.amdhsa_system_sgpr_workgroup_id_y 0
		.amdhsa_system_sgpr_workgroup_id_z 0
		.amdhsa_system_sgpr_workgroup_info 0
		.amdhsa_system_vgpr_workitem_id 0
		.amdhsa_next_free_vgpr 256
		.amdhsa_next_free_sgpr 48
		.amdhsa_reserve_vcc 1
		.amdhsa_reserve_flat_scratch 0
		.amdhsa_float_round_mode_32 0
		.amdhsa_float_round_mode_16_64 0
		.amdhsa_float_denorm_mode_32 3
		.amdhsa_float_denorm_mode_16_64 3
		.amdhsa_dx10_clamp 1
		.amdhsa_ieee_mode 1
		.amdhsa_fp16_overflow 0
		.amdhsa_exception_fp_ieee_invalid_op 0
		.amdhsa_exception_fp_denorm_src 0
		.amdhsa_exception_fp_ieee_div_zero 0
		.amdhsa_exception_fp_ieee_overflow 0
		.amdhsa_exception_fp_ieee_underflow 0
		.amdhsa_exception_fp_ieee_inexact 0
		.amdhsa_exception_int_div_zero 0
	.end_amdhsa_kernel
	.text
.Lfunc_end0:
	.size	bluestein_single_back_len825_dim1_dp_op_CI_CI, .Lfunc_end0-bluestein_single_back_len825_dim1_dp_op_CI_CI
                                        ; -- End function
	.section	.AMDGPU.csdata,"",@progbits
; Kernel info:
; codeLenInByte = 29612
; NumSgprs: 52
; NumVgprs: 256
; ScratchSize: 252
; MemoryBound: 0
; FloatMode: 240
; IeeeMode: 1
; LDSByteSize: 13200 bytes/workgroup (compile time only)
; SGPRBlocks: 6
; VGPRBlocks: 63
; NumSGPRsForWavesPerEU: 52
; NumVGPRsForWavesPerEU: 256
; Occupancy: 1
; WaveLimiterHint : 1
; COMPUTE_PGM_RSRC2:SCRATCH_EN: 1
; COMPUTE_PGM_RSRC2:USER_SGPR: 6
; COMPUTE_PGM_RSRC2:TRAP_HANDLER: 0
; COMPUTE_PGM_RSRC2:TGID_X_EN: 1
; COMPUTE_PGM_RSRC2:TGID_Y_EN: 0
; COMPUTE_PGM_RSRC2:TGID_Z_EN: 0
; COMPUTE_PGM_RSRC2:TIDIG_COMP_CNT: 0
	.type	__hip_cuid_8929081ed1035e48,@object ; @__hip_cuid_8929081ed1035e48
	.section	.bss,"aw",@nobits
	.globl	__hip_cuid_8929081ed1035e48
__hip_cuid_8929081ed1035e48:
	.byte	0                               ; 0x0
	.size	__hip_cuid_8929081ed1035e48, 1

	.ident	"AMD clang version 19.0.0git (https://github.com/RadeonOpenCompute/llvm-project roc-6.4.0 25133 c7fe45cf4b819c5991fe208aaa96edf142730f1d)"
	.section	".note.GNU-stack","",@progbits
	.addrsig
	.addrsig_sym __hip_cuid_8929081ed1035e48
	.amdgpu_metadata
---
amdhsa.kernels:
  - .args:
      - .actual_access:  read_only
        .address_space:  global
        .offset:         0
        .size:           8
        .value_kind:     global_buffer
      - .actual_access:  read_only
        .address_space:  global
        .offset:         8
        .size:           8
        .value_kind:     global_buffer
      - .actual_access:  read_only
        .address_space:  global
        .offset:         16
        .size:           8
        .value_kind:     global_buffer
      - .actual_access:  read_only
        .address_space:  global
        .offset:         24
        .size:           8
        .value_kind:     global_buffer
      - .actual_access:  read_only
        .address_space:  global
        .offset:         32
        .size:           8
        .value_kind:     global_buffer
      - .offset:         40
        .size:           8
        .value_kind:     by_value
      - .address_space:  global
        .offset:         48
        .size:           8
        .value_kind:     global_buffer
      - .address_space:  global
        .offset:         56
        .size:           8
        .value_kind:     global_buffer
      - .address_space:  global
        .offset:         64
        .size:           8
        .value_kind:     global_buffer
      - .address_space:  global
        .offset:         72
        .size:           8
        .value_kind:     global_buffer
      - .offset:         80
        .size:           4
        .value_kind:     by_value
      - .address_space:  global
        .offset:         88
        .size:           8
        .value_kind:     global_buffer
      - .address_space:  global
        .offset:         96
        .size:           8
        .value_kind:     global_buffer
    .group_segment_fixed_size: 13200
    .kernarg_segment_align: 8
    .kernarg_segment_size: 104
    .language:       OpenCL C
    .language_version:
      - 2
      - 0
    .max_flat_workgroup_size: 55
    .name:           bluestein_single_back_len825_dim1_dp_op_CI_CI
    .private_segment_fixed_size: 252
    .sgpr_count:     52
    .sgpr_spill_count: 0
    .symbol:         bluestein_single_back_len825_dim1_dp_op_CI_CI.kd
    .uniform_work_group_size: 1
    .uses_dynamic_stack: false
    .vgpr_count:     256
    .vgpr_spill_count: 62
    .wavefront_size: 64
amdhsa.target:   amdgcn-amd-amdhsa--gfx906
amdhsa.version:
  - 1
  - 2
...

	.end_amdgpu_metadata
